;; amdgpu-corpus repo=ROCm/Tensile kind=harvested arch=n/a opt=n/a

/******************************************/
/* Function Prefix                        */
/******************************************/



/******************************************/
/* Begin Kernel                           */
/******************************************/

// Component.Signature.SignatureDefault
.amdgcn_target "amdgcn-amd-amdhsa--gfx90a"
.text
.protected Cijk_Alik_Bljk_SB_MT128x96x16_MI16x16x4x1_SN_1LDSB1_APM1_ABV0_ACED0_AF0EM1_AF1EM1_AMAS0_ASE_ASGT_ASLT_ASEM1_AAC0_BL0_BS0_CLR0_DTVA0_DVO0_ETSP_EPS0_EMLL0_FL0_GLVWA1_GLVWB1_GRPM1_GRVW1_GSU1_GSUASB_GLS0_ISA90a_IU1_K1_KLA_LBSPPA128_LBSPPB128_LPA2_LPB2_LDL1_LRVW1_LWPMn1_LDW0_FMA_MIAV1_MO40_MMFGLC_NTA0_NTB0_NTC0_NTD0_NEPBS0_NLCA1_NLCB1_ONLL1_OPLV0_PK0_PAP0_PGR2_PLR5_SIA3_SS1_SU0_SUM0_SUS0_SCIUI1_SPO0_SRVW0_SSO0_SVW1_SNLL0_TSGRA0_TSGRB0_TT2_96_TLDS1_UMLDSA1_UMLDSB1_USFGROn1_VAW1_VSn1_VW1_VWB1_VFLRP0_WSGRA0_WSGRB0_WG64_4_1_WGM6
.globl Cijk_Alik_Bljk_SB_MT128x96x16_MI16x16x4x1_SN_1LDSB1_APM1_ABV0_ACED0_AF0EM1_AF1EM1_AMAS0_ASE_ASGT_ASLT_ASEM1_AAC0_BL0_BS0_CLR0_DTVA0_DVO0_ETSP_EPS0_EMLL0_FL0_GLVWA1_GLVWB1_GRPM1_GRVW1_GSU1_GSUASB_GLS0_ISA90a_IU1_K1_KLA_LBSPPA128_LBSPPB128_LPA2_LPB2_LDL1_LRVW1_LWPMn1_LDW0_FMA_MIAV1_MO40_MMFGLC_NTA0_NTB0_NTC0_NTD0_NEPBS0_NLCA1_NLCB1_ONLL1_OPLV0_PK0_PAP0_PGR2_PLR5_SIA3_SS1_SU0_SUM0_SUS0_SCIUI1_SPO0_SRVW0_SSO0_SVW1_SNLL0_TSGRA0_TSGRB0_TT2_96_TLDS1_UMLDSA1_UMLDSB1_USFGROn1_VAW1_VSn1_VW1_VWB1_VFLRP0_WSGRA0_WSGRB0_WG64_4_1_WGM6
.p2align 8
.type Cijk_Alik_Bljk_SB_MT128x96x16_MI16x16x4x1_SN_1LDSB1_APM1_ABV0_ACED0_AF0EM1_AF1EM1_AMAS0_ASE_ASGT_ASLT_ASEM1_AAC0_BL0_BS0_CLR0_DTVA0_DVO0_ETSP_EPS0_EMLL0_FL0_GLVWA1_GLVWB1_GRPM1_GRVW1_GSU1_GSUASB_GLS0_ISA90a_IU1_K1_KLA_LBSPPA128_LBSPPB128_LPA2_LPB2_LDL1_LRVW1_LWPMn1_LDW0_FMA_MIAV1_MO40_MMFGLC_NTA0_NTB0_NTC0_NTD0_NEPBS0_NLCA1_NLCB1_ONLL1_OPLV0_PK0_PAP0_PGR2_PLR5_SIA3_SS1_SU0_SUM0_SUS0_SCIUI1_SPO0_SRVW0_SSO0_SVW1_SNLL0_TSGRA0_TSGRB0_TT2_96_TLDS1_UMLDSA1_UMLDSB1_USFGROn1_VAW1_VSn1_VW1_VWB1_VFLRP0_WSGRA0_WSGRB0_WG64_4_1_WGM6,@function
.section .rodata,#alloc
.p2align 6
.amdhsa_kernel Cijk_Alik_Bljk_SB_MT128x96x16_MI16x16x4x1_SN_1LDSB1_APM1_ABV0_ACED0_AF0EM1_AF1EM1_AMAS0_ASE_ASGT_ASLT_ASEM1_AAC0_BL0_BS0_CLR0_DTVA0_DVO0_ETSP_EPS0_EMLL0_FL0_GLVWA1_GLVWB1_GRPM1_GRVW1_GSU1_GSUASB_GLS0_ISA90a_IU1_K1_KLA_LBSPPA128_LBSPPB128_LPA2_LPB2_LDL1_LRVW1_LWPMn1_LDW0_FMA_MIAV1_MO40_MMFGLC_NTA0_NTB0_NTC0_NTD0_NEPBS0_NLCA1_NLCB1_ONLL1_OPLV0_PK0_PAP0_PGR2_PLR5_SIA3_SS1_SU0_SUM0_SUS0_SCIUI1_SPO0_SRVW0_SSO0_SVW1_SNLL0_TSGRA0_TSGRB0_TT2_96_TLDS1_UMLDSA1_UMLDSB1_USFGROn1_VAW1_VSn1_VW1_VWB1_VFLRP0_WSGRA0_WSGRB0_WG64_4_1_WGM6
  .amdhsa_user_sgpr_kernarg_segment_ptr 1
  .amdhsa_user_sgpr_kernarg_preload_offset 0
  .amdhsa_user_sgpr_kernarg_preload_length 0
  .amdhsa_user_sgpr_count 2
  .amdhsa_accum_offset 168 // accvgpr offset
  .amdhsa_next_free_vgpr 168 // vgprs
  .amdhsa_next_free_sgpr 102 // sgprs
  .amdhsa_group_segment_fixed_size 15232 // lds bytes
  .amdhsa_private_segment_fixed_size 0
  .amdhsa_system_sgpr_workgroup_id_x 1
  .amdhsa_system_sgpr_workgroup_id_y 1
  .amdhsa_system_sgpr_workgroup_id_z 1
  .amdhsa_system_vgpr_workitem_id 0
  .amdhsa_float_denorm_mode_32 3
  .amdhsa_float_denorm_mode_16_64 3
.end_amdhsa_kernel
.text

/******************************************/
/* Optimizations and Config:              */
/******************************************/
/* ThreadTile= 8 x 6 */
/* SubGroup= 16 x 16 */
/* VectorWidthA=1 */
/* VectorWidthB=1 */
/* GlobalLoadVectorWidthA=1, GlobalLoadVectorWidthB=1 */
/* DirectToLdsA=False */
/* DirectToLdsB=False */
/* UseSgprForGRO=False */
.amdgpu_metadata
---
amdhsa.version:
  - 1
  - 1
amdhsa.target: amdgcn-amd-amdhsa--gfx90a
amdhsa.kernels:
  - .name: Cijk_Alik_Bljk_SB_MT128x96x16_MI16x16x4x1_SN_1LDSB1_APM1_ABV0_ACED0_AF0EM1_AF1EM1_AMAS0_ASE_ASGT_ASLT_ASEM1_AAC0_BL0_BS0_CLR0_DTVA0_DVO0_ETSP_EPS0_EMLL0_FL0_GLVWA1_GLVWB1_GRPM1_GRVW1_GSU1_GSUASB_GLS0_ISA90a_IU1_K1_KLA_LBSPPA128_LBSPPB128_LPA2_LPB2_LDL1_LRVW1_LWPMn1_LDW0_FMA_MIAV1_MO40_MMFGLC_NTA0_NTB0_NTC0_NTD0_NEPBS0_NLCA1_NLCB1_ONLL1_OPLV0_PK0_PAP0_PGR2_PLR5_SIA3_SS1_SU0_SUM0_SUS0_SCIUI1_SPO0_SRVW0_SSO0_SVW1_SNLL0_TSGRA0_TSGRB0_TT2_96_TLDS1_UMLDSA1_UMLDSB1_USFGROn1_VAW1_VSn1_VW1_VWB1_VFLRP0_WSGRA0_WSGRB0_WG64_4_1_WGM6
    .symbol: 'Cijk_Alik_Bljk_SB_MT128x96x16_MI16x16x4x1_SN_1LDSB1_APM1_ABV0_ACED0_AF0EM1_AF1EM1_AMAS0_ASE_ASGT_ASLT_ASEM1_AAC0_BL0_BS0_CLR0_DTVA0_DVO0_ETSP_EPS0_EMLL0_FL0_GLVWA1_GLVWB1_GRPM1_GRVW1_GSU1_GSUASB_GLS0_ISA90a_IU1_K1_KLA_LBSPPA128_LBSPPB128_LPA2_LPB2_LDL1_LRVW1_LWPMn1_LDW0_FMA_MIAV1_MO40_MMFGLC_NTA0_NTB0_NTC0_NTD0_NEPBS0_NLCA1_NLCB1_ONLL1_OPLV0_PK0_PAP0_PGR2_PLR5_SIA3_SS1_SU0_SUM0_SUS0_SCIUI1_SPO0_SRVW0_SSO0_SVW1_SNLL0_TSGRA0_TSGRB0_TT2_96_TLDS1_UMLDSA1_UMLDSB1_USFGROn1_VAW1_VSn1_VW1_VWB1_VFLRP0_WSGRA0_WSGRB0_WG64_4_1_WGM6.kd'
    .language:                   OpenCL C
    .language_version:
      - 2
      - 0
    .args:
      - .name:            Tensor2dSizeA
        .size:            8
        .offset:          0
        .value_kind:      by_value
        .value_type:      u64
      - .name:            Tensor2dSizeB
        .size:            8
        .offset:          8
        .value_kind:      by_value
        .value_type:      u64
      - .name:            AddressD
        .size:            8
        .offset:          16
        .value_kind:      by_value
        .value_type:      u64
      - .name:            AddressC
        .size:            8
        .offset:          24
        .value_kind:      by_value
        .value_type:      u64
      - .name:            AddressA
        .size:            8
        .offset:          32
        .value_kind:      by_value
        .value_type:      u64
      - .name:            AddressB
        .size:            8
        .offset:          40
        .value_kind:      by_value
        .value_type:      u64
      - .name:            Alpha
        .size:            4
        .offset:          48
        .value_kind:      by_value
        .value_type:      u32
      - .name:            Beta
        .size:            4
        .offset:          52
        .value_kind:      by_value
        .value_type:      u32
      - .name:            StridesD
        .size:            8
        .offset:          56
        .value_kind:      by_value
        .value_type:      u64
      - .name:            StridesC
        .size:            8
        .offset:          64
        .value_kind:      by_value
        .value_type:      u64
      - .name:            StridesA
        .size:            8
        .offset:          72
        .value_kind:      by_value
        .value_type:      u64
      - .name:            StridesB
        .size:            8
        .offset:          80
        .value_kind:      by_value
        .value_type:      u64
      - .name:            SizesFree
        .size:            12
        .offset:          88
        .value_kind:      by_value
        .value_type:      u96
      - .name:            SizesSum
        .size:            4
        .offset:          100
        .value_kind:      by_value
        .value_type:      u32
      - .name:            NumWorkGroups0
        .size:            4
        .offset:          104
        .value_kind:      by_value
        .value_type:      u32
      - .name:            NumWorkGroups1
        .size:            4
        .offset:          108
        .value_kind:      by_value
        .value_type:      u32
      - .name:            NumFullBlocks
        .size:            4
        .offset:          112
        .value_kind:      by_value
        .value_type:      u32
      - .name:            WgmRemainder1
        .size:            4
        .offset:          116
        .value_kind:      by_value
        .value_type:      u32
      - .name:            MagicNumberWgmRemainder1
        .size:            4
        .offset:          120
        .value_kind:      by_value
        .value_type:      u32
    .group_segment_fixed_size:   15232
    .kernarg_segment_align:      8
    .kernarg_segment_size:       128
    .max_flat_workgroup_size:    256
    .private_segment_fixed_size: 0
    .sgpr_count:                 102
    .sgpr_spill_count:           0
    .vgpr_count:                 168
    .vgpr_spill_count:           0
    .wavefront_size:             64
...
.end_amdgpu_metadata
Cijk_Alik_Bljk_SB_MT128x96x16_MI16x16x4x1_SN_1LDSB1_APM1_ABV0_ACED0_AF0EM1_AF1EM1_AMAS0_ASE_ASGT_ASLT_ASEM1_AAC0_BL0_BS0_CLR0_DTVA0_DVO0_ETSP_EPS0_EMLL0_FL0_GLVWA1_GLVWB1_GRPM1_GRVW1_GSU1_GSUASB_GLS0_ISA90a_IU1_K1_KLA_LBSPPA128_LBSPPB128_LPA2_LPB2_LDL1_LRVW1_LWPMn1_LDW0_FMA_MIAV1_MO40_MMFGLC_NTA0_NTB0_NTC0_NTD0_NEPBS0_NLCA1_NLCB1_ONLL1_OPLV0_PK0_PAP0_PGR2_PLR5_SIA3_SS1_SU0_SUM0_SUS0_SCIUI1_SPO0_SRVW0_SSO0_SVW1_SNLL0_TSGRA0_TSGRB0_TT2_96_TLDS1_UMLDSA1_UMLDSB1_USFGROn1_VAW1_VSn1_VW1_VWB1_VFLRP0_WSGRA0_WSGRB0_WG64_4_1_WGM6:

/******************************************/
/* Asm syntax workarounds                 */
/******************************************/
.macro _v_add_co_u32 dst:req, cc:req, src0:req, src1:req, dpp=
   v_add_co_u32 \dst, \cc, \src0, \src1 \dpp
.endm

.macro _v_add_u32 dst:req, src0:req, src1:req, dpp=
   v_add_u32 \dst, \src0, \src1 \dpp
.endm

.macro _v_add_i32 dst:req, src0:req, src1:req, dpp=
   v_add_i32 \dst, \src0, \src1 \dpp
.endm

.macro _v_addc_co_u32 dst:req, ccOut:req, src0:req, ccIn:req, src1:req, dpp=
   v_addc_co_u32 \dst, \ccOut, \src0, \ccIn, \src1 \dpp
.endm

.macro _v_sub_co_u32 dst:req, cc:req, src0:req, src1:req, dpp=
   v_sub_co_u32 \dst, \cc, \src0, \src1 \dpp
.endm

.macro _v_sub_u32 dst:req, src0:req, src1:req, dpp=
   v_sub_u32 \dst, \src0, \src1 \dpp
.endm

.macro _v_sub_i32 dst:req, src0:req, src1:req, dpp=
   v_sub_i32 \dst, \src0, \src1 \dpp
.endm

.macro _v_add_lshl_u32 dst:req, src0:req, src1:req, shiftCnt:req
    v_add_lshl_u32 \dst, \src0, \src1, \shiftCnt
.endm

.macro _v_lshl_add_u32 dst:req, src0:req, src1:req, shiftCnt:req
    v_lshl_add_u32 \dst, \src0, \src1, \shiftCnt
.endm

.macro _v_lshl_or_b32 dst:req, src0:req, shiftCnt:req, src1:req
    v_lshl_or_b32 \dst, \src0, \shiftCnt, \src1
.endm

.macro _v_dot2acc_f32_f16 dst, src0, src1
v_dot2c_f32_f16 \dst, \src0, \src1
.endm

.macro _v_cmpx_lt_i16 dst, src0, src1=
   v_cmpx_lt_i16 \dst, \src0, \src1 
.endm

.macro _v_cmpx_lt_i32 dst, src0, src1=
   v_cmpx_lt_i32 \dst, \src0, \src1 
.endm

.macro _v_cmpx_lt_i64 dst, src0, src1=
   v_cmpx_lt_i64 \dst, \src0, \src1 
.endm

.macro _v_cmpx_lt_u16 dst, src0, src1=
   v_cmpx_lt_u16 \dst, \src0, \src1 
.endm

.macro _v_cmpx_lt_u32 dst, src0, src1=
   v_cmpx_lt_u32 \dst, \src0, \src1 
.endm

.macro _v_cmpx_lt_u64 dst, src0, src1=
   v_cmpx_lt_u64 \dst, \src0, \src1 
.endm

.macro _v_cmpx_eq_i16 dst, src0, src1=
   v_cmpx_eq_i16 \dst, \src0, \src1 
.endm

.macro _v_cmpx_eq_i32 dst, src0, src1=
   v_cmpx_eq_i32 \dst, \src0, \src1 
.endm

.macro _v_cmpx_eq_i64 dst, src0, src1=
   v_cmpx_eq_i64 \dst, \src0, \src1 
.endm

.macro _v_cmpx_eq_u16 dst, src0, src1=
   v_cmpx_eq_u16 \dst, \src0, \src1 
.endm

.macro _v_cmpx_eq_u32 dst, src0, src1=
   v_cmpx_eq_u32 \dst, \src0, \src1 
.endm

.macro _v_cmpx_eq_u64 dst, src0, src1=
   v_cmpx_eq_u64 \dst, \src0, \src1 
.endm

.macro _v_cmpx_le_i16 dst, src0, src1=
   v_cmpx_le_i16 \dst, \src0, \src1 
.endm

.macro _v_cmpx_le_i32 dst, src0, src1=
   v_cmpx_le_i32 \dst, \src0, \src1 
.endm

.macro _v_cmpx_le_i64 dst, src0, src1=
   v_cmpx_le_i64 \dst, \src0, \src1 
.endm

.macro _v_cmpx_le_u16 dst, src0, src1=
   v_cmpx_le_u16 \dst, \src0, \src1 
.endm

.macro _v_cmpx_le_u32 dst, src0, src1=
   v_cmpx_le_u32 \dst, \src0, \src1 
.endm

.macro _v_cmpx_le_u64 dst, src0, src1=
   v_cmpx_le_u64 \dst, \src0, \src1 
.endm

.macro _v_cmpx_gt_i16 dst, src0, src1=
   v_cmpx_gt_i16 \dst, \src0, \src1 
.endm

.macro _v_cmpx_gt_i32 dst, src0, src1=
   v_cmpx_gt_i32 \dst, \src0, \src1 
.endm

.macro _v_cmpx_gt_i64 dst, src0, src1=
   v_cmpx_gt_i64 \dst, \src0, \src1 
.endm

.macro _v_cmpx_gt_u16 dst, src0, src1=
   v_cmpx_gt_u16 \dst, \src0, \src1 
.endm

.macro _v_cmpx_gt_u32 dst, src0, src1=
   v_cmpx_gt_u32 \dst, \src0, \src1 
.endm

.macro _v_cmpx_gt_u64 dst, src0, src1=
   v_cmpx_gt_u64 \dst, \src0, \src1 
.endm

.macro _v_cmpx_ne_i16 dst, src0, src1=
   v_cmpx_ne_i16 \dst, \src0, \src1 
.endm

.macro _v_cmpx_ne_i32 dst, src0, src1=
   v_cmpx_ne_i32 \dst, \src0, \src1 
.endm

.macro _v_cmpx_ne_i64 dst, src0, src1=
   v_cmpx_ne_i64 \dst, \src0, \src1 
.endm

.macro _v_cmpx_ne_u16 dst, src0, src1=
   v_cmpx_ne_u16 \dst, \src0, \src1 
.endm

.macro _v_cmpx_ne_u32 dst, src0, src1=
   v_cmpx_ne_u32 \dst, \src0, \src1 
.endm

.macro _v_cmpx_ne_u64 dst, src0, src1=
   v_cmpx_ne_u64 \dst, \src0, \src1 
.endm

.macro _v_cmpx_lg_i16 dst, src0, src1=
   v_cmpx_lg_i16 \dst, \src0, \src1 
.endm

.macro _v_cmpx_lg_i32 dst, src0, src1=
   v_cmpx_lg_i32 \dst, \src0, \src1 
.endm

.macro _v_cmpx_lg_i64 dst, src0, src1=
   v_cmpx_lg_i64 \dst, \src0, \src1 
.endm

.macro _v_cmpx_lg_u16 dst, src0, src1=
   v_cmpx_lg_u16 \dst, \src0, \src1 
.endm

.macro _v_cmpx_lg_u32 dst, src0, src1=
   v_cmpx_lg_u32 \dst, \src0, \src1 
.endm

.macro _v_cmpx_lg_u64 dst, src0, src1=
   v_cmpx_lg_u64 \dst, \src0, \src1 
.endm

.macro _v_cmpx_ge_i16 dst, src0, src1=
   v_cmpx_ge_i16 \dst, \src0, \src1 
.endm

.macro _v_cmpx_ge_i32 dst, src0, src1=
   v_cmpx_ge_i32 \dst, \src0, \src1 
.endm

.macro _v_cmpx_ge_i64 dst, src0, src1=
   v_cmpx_ge_i64 \dst, \src0, \src1 
.endm

.macro _v_cmpx_ge_u16 dst, src0, src1=
   v_cmpx_ge_u16 \dst, \src0, \src1 
.endm

.macro _v_cmpx_ge_u32 dst, src0, src1=
   v_cmpx_ge_u32 \dst, \src0, \src1 
.endm

.macro _v_cmpx_ge_u64 dst, src0, src1=
   v_cmpx_ge_u64 \dst, \src0, \src1 
.endm

.macro _v_cmpx_o_i16 dst, src0, src1=
   v_cmpx_o_i16 \dst, \src0, \src1 
.endm

.macro _v_cmpx_o_i32 dst, src0, src1=
   v_cmpx_o_i32 \dst, \src0, \src1 
.endm

.macro _v_cmpx_o_i64 dst, src0, src1=
   v_cmpx_o_i64 \dst, \src0, \src1 
.endm

.macro _v_cmpx_o_u16 dst, src0, src1=
   v_cmpx_o_u16 \dst, \src0, \src1 
.endm

.macro _v_cmpx_o_u32 dst, src0, src1=
   v_cmpx_o_u32 \dst, \src0, \src1 
.endm

.macro _v_cmpx_o_u64 dst, src0, src1=
   v_cmpx_o_u64 \dst, \src0, \src1 
.endm

.macro _v_cmpx_u_i16 dst, src0, src1=
   v_cmpx_u_i16 \dst, \src0, \src1 
.endm

.macro _v_cmpx_u_i32 dst, src0, src1=
   v_cmpx_u_i32 \dst, \src0, \src1 
.endm

.macro _v_cmpx_u_i64 dst, src0, src1=
   v_cmpx_u_i64 \dst, \src0, \src1 
.endm

.macro _v_cmpx_u_u16 dst, src0, src1=
   v_cmpx_u_u16 \dst, \src0, \src1 
.endm

.macro _v_cmpx_u_u32 dst, src0, src1=
   v_cmpx_u_u32 \dst, \src0, \src1 
.endm

.macro _v_cmpx_u_u64 dst, src0, src1=
   v_cmpx_u_u64 \dst, \src0, \src1 
.endm
.macro _v_mac_f32 c:req, a:req, b:req
    v_fmac_f32 \c, \a, \b
.endmacro

/* scale global load macros */
.macro _s_load_b32 dst base offset
    s_load_dword \dst \base \offset
.endm

.macro _s_load_b64 dst base offset
    s_load_dwordx2 \dst \base \offset
.endm

.macro _s_load_b128 dst base offset
    s_load_dwordx4 \dst \base \offset
.endm

.macro _s_load_b256 dst base offset
    s_load_dwordx8 \dst \base \offset
.endm

.macro _s_load_b512 dst base offset
    s_load_dwordx16 \dst \base \offset
.endm


/* ds operation macros */
.macro _ds_load_u8 dst src offset
    ds_read_u8 \dst \src \offset
.endm

.macro _ds_load_u8_d16_hi dst src offset
    ds_read_u8_d16_hi \dst \src \offset
.endm

.macro _ds_load_u16 dst src offset
    ds_read_u16 \dst \src \offset
.endm

.macro _ds_load_u16_d16_hi dst src offset
    ds_read_u16_d16_hi \dst \src \offset
.endm

.macro _ds_load_b32 dst src offset
    ds_read_b32 \dst \src \offset
.endm

.macro _ds_load_b64 dst src offset
    ds_read_b64 \dst \src \offset
.endm

.macro _ds_load_b128 dst src offset
    ds_read_b128 \dst \src \offset
.endm

.macro _ds_store_b8 dst src offset
    ds_write_b8 \dst \src \offset
.endm

.macro _ds_store_b8_d16_hi dst src offset
    ds_write_b8_d16_hi \dst \src \offset
.endm

.macro _ds_store_b16 dst src offset
    ds_write_b16 \dst \src \offset
.endm

.macro _ds_store_b16_d16_hi dst src offset
    ds_write_b16_d16_hi \dst \src \offset
.endm

.macro _ds_store_b32 dst src offset
    ds_write_b32 \dst \src \offset
.endm

.macro _ds_store_b64 dst src offset
    ds_write_b64 \dst \src \offset
.endm

.macro _ds_store_b128 dst src offset
    ds_write_b128 \dst \src \offset
.endm

.macro _ds_load2_b32 dst src offset1 offset2
    ds_read2_b32 \dst \src \offset1 \offset2
.endm

.macro _ds_load2_b64 dst src offset1 offset2
    ds_read2_b64 \dst \src \offset1 \offset2
.endm

.macro _ds_store2_b32 dst src offset1 offset2
    ds_write2_b32 \dst \src \offset1 \offset2
.endm

.macro _ds_store2_b64 dst src offset1 offset2
    ds_write2_b64 \dst \src \offset1 \offset2
.endm


/* buffer memory operation macros */
.macro _buffer_load_b32 dst voffset base soffset offen ioffset md0 md1 md2
    buffer_load_dword \dst \voffset \base \soffset \offen \ioffset \md0 \md1 \md2
.endm

.macro _buffer_load_b64 dst voffset base soffset offen ioffset md0 md1 md2
    buffer_load_dwordx2 \dst \voffset \base \soffset \offen \ioffset \md0 \md1 \md2
.endm

.macro _buffer_load_b96 dst voffset base soffset offen ioffset md0 md1 md2
    buffer_load_dwordx3 \dst \voffset \base \soffset \offen \ioffset \md0 \md1 \md2
.endm

.macro _buffer_load_b128 dst voffset base soffset offen ioffset md0 md1 md2
    buffer_load_dwordx4 \dst \voffset \base \soffset \offen \ioffset \md0 \md1 \md2
.endm

.macro _buffer_load_d16_b16 dst voffset base soffset offen ioffset md0 md1 md2
    buffer_load_short_d16 \dst \voffset \base \soffset \offen \ioffset \md0 \md1 \md2
.endm

.macro _buffer_load_d16_hi_b16 dst voffset base soffset offen ioffset md0 md1 md2
    buffer_load_short_d16_hi \dst \voffset \base \soffset \offen \ioffset \md0 \md1 \md2
.endm

.macro _buffer_load_d16_u8 dst voffset base soffset offen ioffset md0 md1 md2
    buffer_load_ubyte_d16 \dst \voffset \base \soffset \offen \ioffset \md0 \md1 \md2
.endm

.macro _buffer_load_d16_hi_u8 dst voffset base soffset offen ioffset md0 md1 md2
    buffer_load_ubyte_d16_hi \dst \voffset \base \soffset \offen \ioffset \md0 \md1 \md2
.endm

.macro _buffer_load_u16 dst voffset base soffset offen ioffset md0 md1 md2
    buffer_load_ushort \dst \voffset \base \soffset \offen \ioffset \md0 \md1 \md2
.endm

.macro _buffer_load_b32_dtl voffset base soffset offen ioffset md0 md1 md2
    buffer_load_dword \voffset \base \soffset \offen \ioffset \md0 \md1 \md2
.endm

.macro _buffer_load_b64_dtl voffset base soffset offen ioffset md0 md1 md2
    buffer_load_dwordx2 \voffset \base \soffset \offen \ioffset \md0 \md1 \md2
.endm

.macro _buffer_load_b128_dtl voffset base soffset offen ioffset md0 md1 md2
    buffer_load_dwordx4 \voffset \base \soffset \offen \ioffset \md0 \md1 \md2
.endm

.macro _buffer_load_u16_dtl voffset base soffset offen ioffset md0 md1 md2
    buffer_load_ushort \voffset \base \soffset \offen \ioffset \md0 \md1 \md2
.endm

.macro _buffer_store_b32 src voffset base soffset offen ioffset md0 md1 md2
    buffer_store_dword \src \voffset \base \soffset \offen \ioffset \md0 \md1 \md2
.endm

.macro _buffer_store_b64 src voffset base soffset offen ioffset md0 md1 md2
    buffer_store_dwordx2 \src \voffset \base \soffset \offen \ioffset \md0 \md1 \md2
.endm

.macro _buffer_store_b96 src voffset base soffset offen ioffset md0 md1 md2
    buffer_store_dwordx3 \src \voffset \base \soffset \offen \ioffset \md0 \md1 \md2
.endm

.macro _buffer_store_b128 src voffset base soffset offen ioffset md0 md1 md2
    buffer_store_dwordx4 \src \voffset \base \soffset \offen \ioffset \md0 \md1 \md2
.endm

.macro _buffer_store_b16 src voffset base soffset offen ioffset md0 md1 md2
    buffer_store_short \src \voffset \base \soffset \offen \ioffset \md0 \md1 \md2
.endm

.macro _buffer_store_d16_hi_b16 src voffset base soffset offen ioffset md0 md1 md2
    buffer_store_short_d16_hi \src \voffset \base \soffset \offen \ioffset \md0 \md1 \md2
.endm

.macro _buffer_store_b8 src voffset base soffset offen ioffset md0 md1 md2
    buffer_store_byte \src \voffset \base \soffset \offen \ioffset \md0 \md1 \md2
.endm

.macro _buffer_store_d16_hi_b8 src voffset base soffset offen ioffset md0 md1 md2
    buffer_store_byte_d16_hi \src \voffset \base \soffset \offen \ioffset \md0 \md1 \md2
.endm

.macro _buffer_atomic_cmpswap_b32 dst voffset base soffset offen ioffset md0 md1 md2
    buffer_atomic_cmpswap \dst \voffset \base \soffset \offen \ioffset \md0 \md1 \md2
.endm

.macro _buffer_atomic_cmpswap_b64 dst voffset base soffset offen ioffset md0 md1 md2
    buffer_atomic_cmpswap_x2 \dst \voffset \base \soffset \offen \ioffset \md0 \md1 \md2
.endm


/* buffer memory operation macros */
.macro _global_load_b32 dst base src ioffset md0 md1 md2
    global_load_dword \dst \base \src \ioffset \md0 \md1 \md2
.endm

.macro _global_load_b64 dst base src ioffset md0 md1 md2
    global_load_dwordx2 \dst \base \src \ioffset \md0 \md1 \md2
.endm

.macro _global_load_b96 dst base src ioffset md0 md1 md2
    global_load_dwordx3 \dst \base \src \ioffset \md0 \md1 \md2
.endm

.macro _global_load_b128 dst base src ioffset md0 md1 md2
    global_load_dwordx4 \dst \base \src \ioffset \md0 \md1 \md2
.endm

.macro _global_load_d16_b16 dst base src ioffset md0 md1 md2
    global_load_short_d16 \dst \base \src \ioffset \md0 \md1 \md2
.endm

.macro _global_load_d16_hi_b16 dst base src ioffset md0 md1 md2
    global_load_short_d16_hi \dst \base \src \ioffset \md0 \md1 \md2
.endm

.macro _global_load_d16_u8 dst base src ioffset md0 md1 md2
    global_load_ubyte_d16 \dst \base \src \ioffset \md0 \md1 \md2
.endm

.macro _global_load_d16_hi_u8 dst base src ioffset md0 md1 md2
    global_load_ubyte_d16_hi \dst \base \src \ioffset \md0 \md1 \md2
.endm

.macro _global_load_u16 dst base src ioffset md0 md1 md2
    global_load_ushort \dst \base \src \ioffset \md0 \md1 \md2
.endm

.macro _global_store_b32 base src src2 md0 md1 md2
    global_store_dword \base \src \src2 \md0 \md1 \md2
.endm

.macro _global_store_b64 base src src2 md0 md1 md2
    global_store_dwordx2 \base \src \src2 \md0 \md1 \md2
.endm

.macro _global_store_b96 base src src2 md0 md1 md2
    global_store_dwordx3 \base \src \src2 \md0 \md1 \md2
.endm

.macro _global_store_b128 base src src2 md0 md1 md2
    global_store_dwordx4 \base \src \src2 \md0 \md1 \md2
.endm

.macro _global_store_d16_b16 base src src2 md0 md1 md2
    global_store_short \base \src \src2 \md0 \md1 \md2
.endm

.macro _global_store_d16_hi_b16 base src src2 md0 md1 md2
    global_store_short_d16_hi \base \src \src2 \md0 \md1 \md2
.endm

.macro _global_store_d16_u8 base src src2 md0 md1 md2
    global_store_ubyte_d16 \base \src \src2 \md0 \md1 \md2
.endm

.macro _global_store_d16_hi_u8 base src src2 md0 md1 md2
    global_store_ubyte_d16_hi \base \src \src2 \md0 \md1 \md2
.endm

.macro _global_store_u16 base src src2 md0 md1 md2
    global_store_ushort \base \src \src2 \md0 \md1 \md2
.endm

.macro _global_atomic_cmpswap_b32 tmp base data src ioffset md
    global_atomic_cmpswap \tmp \base \data \src \ioffset \md
.endm

.macro _global_atomic_cmpswap_b64 tmp base data src ioffset md
    global_atomic_cmpswap_x2 \tmp \base \data \src \ioffset \md
.endm


/******************************************/
/* Magic div and mod functions            */
/******************************************/
.macro V_MAGIC_DIV dstIdx:req, dividend:req, magicNumber:req, magicShift:req, magicA:req
    v_mul_hi_u32 v[\dstIdx+1], \dividend, \magicNumber
    v_mul_lo_u32 v[\dstIdx+0], \dividend, \magicA
    _v_add_u32 v[\dstIdx+0], v[\dstIdx+0], v[\dstIdx+1]
    v_lshrrev_b32 v[\dstIdx+0], \magicShift, v[\dstIdx+0]
.endm

/******************************************/
/* VGPR Assignments                       */
/******************************************/
/* ValuC range: [0-48), serializedStore enabled */
.set vgprValuC, 0
/* ValuA/B   Xn=PLR buffer idx,  In=InnerUnroll idx */
.set vgprValuA_X0_I0, 48
.set vgprValuA_X1_I0, 50
.set vgprValuA_X2_I0, 52
.set vgprValuA_X3_I0, 54
.set vgprG2LA, 114
.set vgprValuB_X0_I0, 56
.set vgprValuB_X1_I0, 62
.set vgprValuB_X2_I0, 68
.set vgprValuB_X3_I0, 74
.set vgprG2LB, 122
.set vgprLocalWriteAddrA, 80
.set vgprLocalWriteAddrB, 81
.set vgprGlobalReadAddrA, 82
.set vgprGlobalReadAddrB, 98
.set vgprGlobalReadIncsA, 110
.set vgprGlobalReadIncsB, 112
.set vgprLocalReadAddrA, 128
.set vgprLocalReadAddrB, 129
.set vgprSerial, 130
/* Num VGPR=168 */
/* Num AccVGPR=0 */

/******************************************/
/* SGPR Assignments                       */
/******************************************/
.set sgprKernArgAddress, 0 // (2)
.set sgprWorkGroup0, 2 // (1)
.set sgprWorkGroup1, 3 // (1)
.set sgprWorkGroup2, 4 // (1)
.set sgprLoopCounterL, 5 // (1)
.set sgprOrigLoopCounter, 6 // (1)
.set sgprTensor2dSizeA, 8 // (2)
.set sgprTensor2dSizeB, 10 // (2)
.set sgprAddressD, 12 // (2)
.set sgprAddressC, 14 // (2)
.set sgprAddressA, 16 // (2)
.set sgprAddressB, 18 // (2)
.set sgprAlpha, 20 // (1)
.set sgprBeta, 21 // (1)
.set sgprStridesD, 22 // (2)
.set sgprStridesC, 24 // (2)
.set sgprStridesA, 26 // (2)
.set sgprStridesB, 28 // (2)
.set sgprSizesFree, 30 // (3)
.set sgprSizesSum, 33 // (1)
.set sgprNumWorkGroups0, 34 // (1)
.set sgprNumWorkGroups1, 35 // (1)
.set sgprNumFullBlocks, 36 // (1)
.set sgprWgmRemainder1, 37 // (1)
.set sgprMagicNumberWgmRemainder1, 38 // (1)
/* max SGPR=102 */

/* Size Assignments */
.set sgprSizeI, sgprSizesFree+0
.set sgprSizeJ, sgprSizesFree+1
.set sgprSizeK, sgprSizesFree+2
.set sgprSizeL, sgprSizesSum+0

/* Stride Assignments */
.set constStrideD0I, 1
.set sgprStrideD1J, sgprStridesD+0
.set sgprStrideDK, sgprStridesD+1
.set constStrideC0I, 1
.set sgprStrideC1J, sgprStridesC+0
.set sgprStrideCK, sgprStridesC+1
.set constStrideAL, 1
.set sgprStrideA0I, sgprStridesA+0
.set sgprStrideAK, sgprStridesA+1
.set constStrideBL, 1
.set sgprStrideB1J, sgprStridesB+0
.set sgprStrideBK, sgprStridesB+1

.set MT0, 128
.set MT1, 96
.set DepthU, 16
.set GSU, 1
.set BpeA, 4
.set BpeALog2, 2
.set BpeB, 4
.set BpeBLog2, 2
/* Number of elements to shift-left SRD */
.set SrdShiftLeftA, 1
.set SrdShiftLeftB, 1

/* Global Offset D */
.macro GLOBAL_OFFSET_D vgprAddr:req vgprOffset0I:req vgprOffset1J:req sgprOffsetK:req vgprTmp:req
v_mul_lo_u32 v[\vgprTmp+0], s[sgprStrideD1J], v[\vgprOffset1J] // mul d1 lower
v_mul_hi_u32 v[\vgprTmp+1], s[sgprStrideD1J], v[\vgprOffset1J] // mul d1 upper
_v_add_co_u32 v[\vgprAddr+0], vcc, v[\vgprOffset0I], v[\vgprTmp+0] // accumulate K lower
_v_addc_co_u32 v[\vgprAddr+1], vcc, v[\vgprTmp+1], 0, vcc // accumulate K upper
v_mov_b32 v[\vgprTmp+2], s[\sgprOffsetK]           // sgprOffset -> vgprTmp+2
v_mul_lo_u32 v[\vgprTmp+0], s[sgprStrideDK], v[\vgprTmp+2] // other stride mul d2 lower
v_mul_hi_u32 v[\vgprTmp+1], s[sgprStrideDK], v[\vgprTmp+2] // mul d2 upper
_v_add_co_u32 v[\vgprAddr+0], vcc, v[\vgprAddr+0], v[\vgprTmp+0] // accumulate K lower
_v_addc_co_u32 v[\vgprAddr+1], vcc, v[\vgprTmp+1], v[\vgprAddr+1], vcc // accumulate K upper
v_lshlrev_b64 v[\vgprAddr+0:\vgprAddr+1], 0x2, v[\vgprAddr+0:\vgprAddr+1] // offset *= bytes/element
.endm

/* Global Offset C */
.macro GLOBAL_OFFSET_C vgprAddr:req vgprOffset0I:req vgprOffset1J:req sgprOffsetK:req vgprTmp:req
v_mul_lo_u32 v[\vgprTmp+0], s[sgprStrideC1J], v[\vgprOffset1J] // mul d1 lower
v_mul_hi_u32 v[\vgprTmp+1], s[sgprStrideC1J], v[\vgprOffset1J] // mul d1 upper
_v_add_co_u32 v[\vgprAddr+0], vcc, v[\vgprOffset0I], v[\vgprTmp+0] // accumulate K lower
_v_addc_co_u32 v[\vgprAddr+1], vcc, v[\vgprTmp+1], 0, vcc // accumulate K upper
v_mov_b32 v[\vgprTmp+2], s[\sgprOffsetK]           // sgprOffset -> vgprTmp+2
v_mul_lo_u32 v[\vgprTmp+0], s[sgprStrideCK], v[\vgprTmp+2] // other stride mul d2 lower
v_mul_hi_u32 v[\vgprTmp+1], s[sgprStrideCK], v[\vgprTmp+2] // mul d2 upper
_v_add_co_u32 v[\vgprAddr+0], vcc, v[\vgprAddr+0], v[\vgprTmp+0] // accumulate K lower
_v_addc_co_u32 v[\vgprAddr+1], vcc, v[\vgprTmp+1], v[\vgprAddr+1], vcc // accumulate K upper
v_lshlrev_b64 v[\vgprAddr+0:\vgprAddr+1], 0x2, v[\vgprAddr+0:\vgprAddr+1] // offset *= bytes/element
.endm

/* Global Offset A */
.macro GLOBAL_OFFSET_A vgprAddr:req vgprOffsetL:req vgprOffset0I:req sgprOffsetK:req vgprTmp:req
v_mul_lo_u32 v[\vgprTmp+0], s[sgprStrideA0I], v[\vgprOffset0I] // mul d1 lower
v_mul_hi_u32 v[\vgprTmp+1], s[sgprStrideA0I], v[\vgprOffset0I] // mul d1 upper
_v_add_co_u32 v[\vgprAddr+0], vcc, v[\vgprOffsetL], v[\vgprTmp+0] // accumulate K lower
_v_addc_co_u32 v[\vgprAddr+1], vcc, v[\vgprTmp+1], 0, vcc // accumulate K upper
v_mov_b32 v[\vgprTmp+2], s[\sgprOffsetK]           // sgprOffset -> vgprTmp+2
v_mul_lo_u32 v[\vgprTmp+0], s[sgprStrideAK], v[\vgprTmp+2] // other stride mul d2 lower
v_mul_hi_u32 v[\vgprTmp+1], s[sgprStrideAK], v[\vgprTmp+2] // mul d2 upper
_v_add_co_u32 v[\vgprAddr+0], vcc, v[\vgprAddr+0], v[\vgprTmp+0] // accumulate K lower
_v_addc_co_u32 v[\vgprAddr+1], vcc, v[\vgprTmp+1], v[\vgprAddr+1], vcc // accumulate K upper
v_lshlrev_b64 v[\vgprAddr+0:\vgprAddr+1], 0x2, v[\vgprAddr+0:\vgprAddr+1] // offset *= bytes/element
.endm

/* Global Offset B */
.macro GLOBAL_OFFSET_B vgprAddr:req vgprOffsetL:req vgprOffset1J:req sgprOffsetK:req vgprTmp:req
v_mul_lo_u32 v[\vgprTmp+0], s[sgprStrideB1J], v[\vgprOffset1J] // mul d1 lower
v_mul_hi_u32 v[\vgprTmp+1], s[sgprStrideB1J], v[\vgprOffset1J] // mul d1 upper
_v_add_co_u32 v[\vgprAddr+0], vcc, v[\vgprOffsetL], v[\vgprTmp+0] // accumulate K lower
_v_addc_co_u32 v[\vgprAddr+1], vcc, v[\vgprTmp+1], 0, vcc // accumulate K upper
v_mov_b32 v[\vgprTmp+2], s[\sgprOffsetK]           // sgprOffset -> vgprTmp+2
v_mul_lo_u32 v[\vgprTmp+0], s[sgprStrideBK], v[\vgprTmp+2] // other stride mul d2 lower
v_mul_hi_u32 v[\vgprTmp+1], s[sgprStrideBK], v[\vgprTmp+2] // mul d2 upper
_v_add_co_u32 v[\vgprAddr+0], vcc, v[\vgprAddr+0], v[\vgprTmp+0] // accumulate K lower
_v_addc_co_u32 v[\vgprAddr+1], vcc, v[\vgprTmp+1], v[\vgprAddr+1], vcc // accumulate K upper
v_lshlrev_b64 v[\vgprAddr+0:\vgprAddr+1], 0x2, v[\vgprAddr+0:\vgprAddr+1] // offset *= bytes/element
.endm

/******************************************/
/* Dynamic Scalar Divide: vQuotient=vDividend/vDivisor; vRemainder=vDividend%vDivisor; */
/******************************************/
.macro DYNAMIC_VECTOR_DIVIDE vQuotient vRemainder vDividend vDivisor vTmp0 vTmp1 sTmp
v_cvt_f32_u32 v[\vQuotient], v[\vDivisor]          // 
v_rcp_f32 v[\vQuotient], v[\vQuotient]             // 
v_mul_f32 v[\vQuotient], 0x4f800000, v[\vQuotient] // 
v_cvt_u32_f32 v[\vQuotient], v[\vQuotient]         // 
v_mul_lo_u32 v[\vRemainder], v[\vDivisor], v[\vQuotient] // 
v_mul_hi_u32 v[\vTmp0], v[\vDivisor], v[\vQuotient] // 
_v_sub_co_u32 v[\vTmp1], vcc, 0x0, v[\vRemainder]  // 
v_cmp_ne_i32 s[\sTmp:\sTmp+1], 0x0, v[\vTmp0]      // 
v_cndmask_b32 v[\vRemainder], v[\vTmp1], v[\vRemainder], s[\sTmp:\sTmp+1] // 
v_mul_hi_u32 v[\vRemainder], v[\vRemainder], v[\vQuotient] // 
_v_sub_co_u32 v[\vTmp0], vcc, v[\vQuotient], v[\vRemainder] // 
_v_add_co_u32 v[\vQuotient], vcc, v[\vQuotient], v[\vRemainder] // 
v_cndmask_b32 v[\vQuotient], v[\vQuotient], v[\vTmp0], s[\sTmp:\sTmp+1] // 
v_mul_hi_u32 v[\vQuotient], v[\vQuotient], v[\vDividend] // 
v_mul_lo_u32 v[\vRemainder], v[\vQuotient], v[\vDivisor] // 
_v_sub_co_u32 v[\vTmp0], vcc, v[\vDividend], v[\vRemainder] // 
v_cmp_ge_u32 s[\sTmp:\sTmp+1], v[\vDividend], v[\vRemainder] // 
_v_add_co_u32 v[\vRemainder], vcc, 0x1, v[\vQuotient] // 
_v_add_co_u32 v[\vTmp1], vcc, -1, v[\vQuotient]    // 
v_cmp_le_u32 vcc, v[\vDivisor], v[\vTmp0]          // 
s_and_b64 vcc, s[\sTmp:\sTmp+1], vcc               // 
v_cndmask_b32 v[\vQuotient], v[\vQuotient], v[\vRemainder], vcc // 
v_cndmask_b32 v[\vQuotient], v[\vTmp1], v[\vQuotient], s[\sTmp:\sTmp+1] // 
v_cmp_ne_i32 vcc, 0x0, v[\vDivisor]                // 
v_cndmask_b32 v[\vQuotient], -1, v[\vQuotient], vcc // final result
v_mul_lo_u32 v[\vRemainder], v[\vQuotient], v[\vDivisor] // 
_v_sub_co_u32 v[\vRemainder], vcc, v[\vDividend], v[\vRemainder] // final result
.endm


	;; [unrolled: 1-line block ×3, first 2 shown]
/******************************************/
/* Allocate Resources                     */
/******************************************/

Cijk_Alik_Bljk_SB_MT128x96x16_MI16x16x4x1_SN_1LDSB1_APM1_ABV0_ACED0_AF0EM1_AF1EM1_AMAS0_ASE_ASGT_ASLT_ASEM1_AAC0_BL0_BS0_CLR0_DTVA0_DVO0_ETSP_EPS0_EMLL0_FL0_GLVWA1_GLVWB1_GRPM1_GRVW1_GSU1_GSUASB_GLS0_ISA90a_IU1_K1_KLA_LBSPPA128_LBSPPB128_LPA2_LPB2_LDL1_LRVW1_LWPMn1_LDW0_FMA_MIAV1_MO40_MMFGLC_NTA0_NTB0_NTC0_NTD0_NEPBS0_NLCA1_NLCB1_ONLL1_OPLV0_PK0_PAP0_PGR2_PLR5_SIA3_SS1_SU0_SUM0_SUS0_SCIUI1_SPO0_SRVW0_SSO0_SVW1_SNLL0_TSGRA0_TSGRB0_TT2_96_TLDS1_UMLDSA1_UMLDSB1_USFGROn1_VAW1_VSn1_VW1_VWB1_VFLRP0_WSGRA0_WSGRB0_WG64_4_1_WGM6_preloaded: // Kernel start when preloading

/* Load Kernel Args */
_s_load_b512 s[8:23], s[sgprKernArgAddress:sgprKernArgAddress+1], 0x0 // 
_s_load_b256 s[24:31], s[sgprKernArgAddress:sgprKernArgAddress+1], 0x40 // 
_s_load_b128 s[32:35], s[sgprKernArgAddress:sgprKernArgAddress+1], 0x60 // 
_s_load_b64 s[36:37], s[sgprKernArgAddress:sgprKernArgAddress+1], 0x70 // 
_s_load_b32 s38, s[sgprKernArgAddress:sgprKernArgAddress+1], 0x78 // 
s_mov_b32 m0, 0x3b80                               // LDS clamp at 15232 bytes
v_mov_b32 v[vgprSerial], v0                        // thread serial id

/******************************************/
/* Local Read Addresses                   */
/******************************************/


/* local read addresses: tile assignments a/b */

/*lr0I*/
v_and_b32 v1, 63, v[vgprSerial]                    // 0. thread id in wave: wtid = tid % wavelength(64)
v_and_b32 v0, 15, v1                               // 1. N offset: nIdx = wtid % MI_N(16)
v_lshlrev_b32 v0, 0x4, v0                          // 1. N offset: nOffset = nIdx * nStride(16)
                                                   // 2. block offset: bnIdx = bnIdx % num1DBlocks(1) is 0. do nothing
                                                   // 4. apply VectorWidth: bnOffset = bnOffset * vw(1) (multiplier is 1, do nothing)
v_lshrrev_b32 v1, 4, v1                            // 5. K offset: kIdx = wtid / (MIN(16) * MIBB(1))
                                                   // 5. K offset: lrKOffset = kIdx * mStride(1) (multiplier is 1, do nothing)
_v_add_u32 v0, v1, v0                              // 6. offset in wave: lrOffset = bnOffset + lrKOffset
v_lshrrev_b32 v2, 6, v[vgprSerial]                 // 7. wave offset in N dimen: wtid = tid / dividedForWaveId(64)
v_and_b32 v1, 3, v2                                // 7. wave offset in M dimen: wtid0 = wtid / num1DWaves(4)
v_lshlrev_b32 v1, 0x8, v1                          // 7. wave offset in M dimen: wOffset = wtid0 * W0Stride(256)
_v_add_u32 v0, v1, v0                              // 8. final local read offset: flrOffset = lrOffset + WOffset
/*lr1J*/
v_and_b32 v2, 63, v[vgprSerial]                    // 0. thread id in wave: wtid = tid % wavelength(64)
v_and_b32 v1, 15, v2                               // 1. N offset: nIdx = wtid % MI_N(16)
v_lshlrev_b32 v1, 0x4, v1                          // 1. N offset: nOffset = nIdx * nStride(16)
                                                   // 2. block offset: bnIdx = bnIdx % num1DBlocks(1) is 0. do nothing
                                                   // 4. apply VectorWidth: bnOffset = bnOffset * vw(1) (multiplier is 1, do nothing)
v_lshrrev_b32 v2, 4, v2                            // 5. K offset: kIdx = wtid / (MIN(16) * MIBB(1))
                                                   // 5. K offset: lrKOffset = kIdx * mStride(1) (multiplier is 1, do nothing)
_v_add_u32 v1, v2, v1                              // 6. offset in wave: lrOffset = bnOffset + lrKOffset


/* local read addresses: final offsets a */

v_lshlrev_b32 v[vgprLocalReadAddrA], 0x2, v0       // Final Offset: offset = (lro0)*bpe
v_lshrrev_b32 v0, 7, v[vgprLocalReadAddrA]         // Final Offset: padding 2 per block 128
v_lshlrev_b32 v0, 0x3, v0                          // Final Offset: padding 2 per block 128
_v_add_u32 v[vgprLocalReadAddrA], v0, v[vgprLocalReadAddrA] // Final Offset: add padding 2 per block 128


/* local read addresses: final offsets b */

v_lshlrev_b32 v[vgprLocalReadAddrB], 0x2, v1       // Final Offset: offset = (lro1)*bpe
v_lshrrev_b32 v0, 7, v[vgprLocalReadAddrB]         // Final Offset: padding 2 per block 128
v_lshlrev_b32 v0, 0x3, v0                          // Final Offset: padding 2 per block 128
_v_add_u32 v[vgprLocalReadAddrB], v0, v[vgprLocalReadAddrB] // Final Offset: add padding 2 per block 128


/* local read addresses: declare addresses a */

/* N/A */


/* local read addresses: declare addresses b */

_v_add_co_u32 v[vgprLocalReadAddrB+0], vcc, 0x2200, v[vgprLocalReadAddrB+0] //  += LdsOffsetB (lower)
s_waitcnt lgkmcnt(0)                               // wait for 124 bytes of kern args


/* Short circuit condition if Alpha == 0, then sumDims=0 */
v_cmp_eq_f32 vcc, s[sgprAlpha], 0.0                // Alpha == 0.0f ?
s_cbranch_vccz label_AlphaNonZero                  // branch if alpha != 0
s_mov_b32 s[sgprSizesSum+0], 0x0                   // Set summation dim=0 if Alpha == 0
label_AlphaNonZero:


	;; [unrolled: 1-line block ×3, first 2 shown]
/******************************************/
/* Begin setupNewTile, isPap=False           */
/******************************************/


/* global read addresses: work-group */

/* graWorkGroup mapping */
s_mov_b32 s43, 0x15555556L                         // magic number for WGM==6
s_mul_hi_u32 s41, s[sgprWorkGroup1], s43           // s_magic mul
s_mul_i32 s40, s[sgprWorkGroup1], s43              // s_magic mul
s_lshr_b64 s[40:41], s[40:41], 31                  // sMagicDiv
s_mul_i32 s41, s40, 6                              // quotient * non-magic divisor
s_sub_u32 s41, s[sgprWorkGroup1], s41              // WorkGroup1=remainder
s_mul_i32 s41, s41, s[sgprNumWorkGroups0]          // (wg1 % WGM)*nwg0
s_add_u32 s41, s41, s[sgprWorkGroup0]              // wgSerial = wg0 + (wg1 % WGM)*nwg1
s_cmp_ge_u32 s40, s[sgprNumFullBlocks]             // blockId >= numFullBlocks ?
s_cmov_b32 s43, s[sgprMagicNumberWgmRemainder1]    // 
s_cselect_b32 s42, s[sgprWgmRemainder1], 6         // 
s_mul_hi_u32 s3, s41, s43                          // s_magic mul
s_mul_i32 s2, s41, s43                             // s_magic mul
s_lshr_b64 s[2:3], s[2:3], 31                      // sMagicDiv
s_mul_i32 s[sgprWorkGroup1], s[sgprWorkGroup0], s42 // quotient * non-magic divisor
s_sub_u32 s[sgprWorkGroup1], s41, s[sgprWorkGroup1] // WorkGroup1=remainder
s_mul_i32 s40, s40, 6                              // blockId * WGM
s_add_u32 s[sgprWorkGroup1], s[sgprWorkGroup1], s40 // wg1 += blockId * WGM


/* global read addresses: tile offset assignment a */

/* LVCA = 16 */
/* v2 = groA-tile = serial/LVCA + (wgA*MTA) */
/* v1 = groA-unroll = serial%LVCA */
v_lshrrev_b32 v0, 4, v[vgprSerial]                 // v0 = v[vgprSerial] / 16
v_and_b32 v1, 15, v[vgprSerial]                    // v1 = v[vgprSerial] % 16
/* gro-unroll *= glvw */
                                                   // v1 = v1 * 1 (multiplier is 1, do nothing)
v_lshlrev_b32 v3, 0x7, s[sgprWorkGroup0]           // v3 = s[sgprWorkGroup0] * 128
_v_add_co_u32 v2, vcc, v3, v0                      // groA-tile = serial/LVCA*VW + (wgA*MTA)


/* global read addresses: tile offset assignment b */

/* LVCB = 16 */
/* v5 = groB-tile = serial/LVCB + (wgB*MTB) */
/* v4 = groB-unroll = serial%LVCB */
v_lshrrev_b32 v3, 4, v[vgprSerial]                 // v3 = v[vgprSerial] / 16
v_and_b32 v4, 15, v[vgprSerial]                    // v4 = v[vgprSerial] % 16
/* gro-unroll *= glvw */
                                                   // v4 = v4 * 1 (multiplier is 1, do nothing)
v_mov_b32 v6, 0x60                                 // v6 = s[sgprWorkGroup1] * 96
v_mul_lo_u32 v6, v6, s[sgprWorkGroup1]             // v6 = s[sgprWorkGroup1] * 96
_v_add_co_u32 v5, vcc, v6, v3                      // groB-tile = serial/LVCB*VW + (wgB*MTB)


/* global read addresses: unroll assignment a */

/* v1 */


/* global read addresses: unroll assignment b */

/* v4 */


/* global read addresses: other free assignments */

/* s[sgprWorkGroup2] */


/* global read addresses: tile offsets a */

v_mov_b32 v6, v2                                   // groA0I_0
_v_add_co_u32 v7, vcc, 16, v6                      // groA0I_1 += LSPA
_v_add_co_u32 v8, vcc, 16, v7                      // groA0I_2 += LSPA
_v_add_co_u32 v9, vcc, 16, v8                      // groA0I_3 += LSPA
_v_add_co_u32 v10, vcc, 16, v9                     // groA0I_4 += LSPA
_v_add_co_u32 v11, vcc, 16, v10                    // groA0I_5 += LSPA
_v_add_co_u32 v12, vcc, 16, v11                    // groA0I_6 += LSPA
_v_add_co_u32 v13, vcc, 16, v12                    // groA0I_7 += LSPA


/* global read addresses: tile offsets b */

v_mov_b32 v14, v5                                  // groB1J_0
_v_add_co_u32 v15, vcc, 16, v14                    // groB1J_1 += LSPB
_v_add_co_u32 v16, vcc, 16, v15                    // groB1J_2 += LSPB
_v_add_co_u32 v17, vcc, 16, v16                    // groB1J_3 += LSPB
_v_add_co_u32 v18, vcc, 16, v17                    // groB1J_4 += LSPB
_v_add_co_u32 v19, vcc, 16, v18                    // groB1J_5 += LSPB


/* global read addresses: unroll offsets a */

v_mov_b32 v2, v1                                   // groAL_0


/* global read addresses: unroll offsets b */

v_mov_b32 v5, v4                                   // groBL_0


/* global read addresses: shift a */

s_sub_u32 s0, s[sgprSizeI], 1                      // edge = Size0I-1
v_mov_b32 v20, s0                                  // edge vgpr = Size0I-1
v_cmp_lt_u32 s[0:1], v6, v20                       // shiftedOffset < shiftedEdge
v_cndmask_b32 v6, v20, v6, s[0:1]                  // offset = (offset < edge) ? offset(v6) : edge(v20)
v_cmp_lt_u32 s[0:1], v7, v20                       // shiftedOffset < shiftedEdge
v_cndmask_b32 v7, v20, v7, s[0:1]                  // offset = (offset < edge) ? offset(v7) : edge(v20)
	;; [unrolled: 2-line block ×4, first 2 shown]
v_cmp_lt_u32 s[0:1], v10, v20                      // shiftedOffset < shiftedEdge
v_cndmask_b32 v10, v20, v10, s[0:1]                // offset = (offset < edge) ? offset(v10) : edge(v20)
v_cmp_lt_u32 s[0:1], v11, v20                      // shiftedOffset < shiftedEdge
v_cndmask_b32 v11, v20, v11, s[0:1]                // offset = (offset < edge) ? offset(v11) : edge(v20)
	;; [unrolled: 2-line block ×4, first 2 shown]


/* global read addresses: shift b */

s_sub_u32 s0, s[sgprSizeJ], 1                      // edge = Size1J-1
v_mov_b32 v20, s0                                  // edge vgpr = Size1J-1
v_cmp_lt_u32 s[0:1], v14, v20                      // shiftedOffset < shiftedEdge
v_cndmask_b32 v14, v20, v14, s[0:1]                // offset = (offset < edge) ? offset(v14) : edge(v20)
v_cmp_lt_u32 s[0:1], v15, v20                      // shiftedOffset < shiftedEdge
v_cndmask_b32 v15, v20, v15, s[0:1]                // offset = (offset < edge) ? offset(v15) : edge(v20)
	;; [unrolled: 2-line block ×6, first 2 shown]


/* global read addresses: final offsets a */

GLOBAL_OFFSET_A vgprGlobalReadAddrA+0,  2,  6, sgprWorkGroup2, 20 // gROA_0_0_0_0
GLOBAL_OFFSET_A vgprGlobalReadAddrA+2,  2,  7, sgprWorkGroup2, 20 // gROA_0_0_1_0
GLOBAL_OFFSET_A vgprGlobalReadAddrA+4,  2,  8, sgprWorkGroup2, 20 // gROA_0_0_2_0
GLOBAL_OFFSET_A vgprGlobalReadAddrA+6,  2,  9, sgprWorkGroup2, 20 // gROA_0_0_3_0
GLOBAL_OFFSET_A vgprGlobalReadAddrA+8,  2, 10, sgprWorkGroup2, 20 // gROA_0_0_4_0
GLOBAL_OFFSET_A vgprGlobalReadAddrA+10,  2, 11, sgprWorkGroup2, 20 // gROA_0_0_5_0
GLOBAL_OFFSET_A vgprGlobalReadAddrA+12,  2, 12, sgprWorkGroup2, 20 // gROA_0_0_6_0
GLOBAL_OFFSET_A vgprGlobalReadAddrA+14,  2, 13, sgprWorkGroup2, 20 // gROA_0_0_7_0


/* global read addresses: final offsets b */

GLOBAL_OFFSET_B vgprGlobalReadAddrB+0,  5, 14, sgprWorkGroup2, 6 // gROB_0_0_0_0
GLOBAL_OFFSET_B vgprGlobalReadAddrB+2,  5, 15, sgprWorkGroup2, 6 // gROB_0_0_1_0
GLOBAL_OFFSET_B vgprGlobalReadAddrB+4,  5, 16, sgprWorkGroup2, 6 // gROB_0_0_2_0
GLOBAL_OFFSET_B vgprGlobalReadAddrB+6,  5, 17, sgprWorkGroup2, 6 // gROB_0_0_3_0
GLOBAL_OFFSET_B vgprGlobalReadAddrB+8,  5, 18, sgprWorkGroup2, 6 // gROB_0_0_4_0
GLOBAL_OFFSET_B vgprGlobalReadAddrB+10,  5, 19, sgprWorkGroup2, 6 // gROB_0_0_5_0


/* global read addresses: addresses a */

v_mov_b32 v5, s[sgprAddressA+0]                    // 
v_mov_b32 v6, s[sgprAddressA+1]                    // 
_v_add_co_u32 v[vgprGlobalReadAddrA+0+0], vcc, v[vgprGlobalReadAddrA+0+0], v5 // gRAA_0_0_0_0 = addrA+grOA_0_0_0_0 (lower)
_v_addc_co_u32 v[vgprGlobalReadAddrA+0+1], vcc, v[vgprGlobalReadAddrA+0+1], v6, vcc // gRAA_0_0_0_0 = addrA+grOA_0_0_0_0 (upper)
_v_add_co_u32 v[vgprGlobalReadAddrA+2+0], vcc, v[vgprGlobalReadAddrA+2+0], v5 // gRAA_0_0_1_0 = addrA+grOA_0_0_1_0 (lower)
_v_addc_co_u32 v[vgprGlobalReadAddrA+2+1], vcc, v[vgprGlobalReadAddrA+2+1], v6, vcc // gRAA_0_0_1_0 = addrA+grOA_0_0_1_0 (upper)
_v_add_co_u32 v[vgprGlobalReadAddrA+4+0], vcc, v[vgprGlobalReadAddrA+4+0], v5 // gRAA_0_0_2_0 = addrA+grOA_0_0_2_0 (lower)
_v_addc_co_u32 v[vgprGlobalReadAddrA+4+1], vcc, v[vgprGlobalReadAddrA+4+1], v6, vcc // gRAA_0_0_2_0 = addrA+grOA_0_0_2_0 (upper)
_v_add_co_u32 v[vgprGlobalReadAddrA+6+0], vcc, v[vgprGlobalReadAddrA+6+0], v5 // gRAA_0_0_3_0 = addrA+grOA_0_0_3_0 (lower)
_v_addc_co_u32 v[vgprGlobalReadAddrA+6+1], vcc, v[vgprGlobalReadAddrA+6+1], v6, vcc // gRAA_0_0_3_0 = addrA+grOA_0_0_3_0 (upper)
_v_add_co_u32 v[vgprGlobalReadAddrA+8+0], vcc, v[vgprGlobalReadAddrA+8+0], v5 // gRAA_0_0_4_0 = addrA+grOA_0_0_4_0 (lower)
_v_addc_co_u32 v[vgprGlobalReadAddrA+8+1], vcc, v[vgprGlobalReadAddrA+8+1], v6, vcc // gRAA_0_0_4_0 = addrA+grOA_0_0_4_0 (upper)
_v_add_co_u32 v[vgprGlobalReadAddrA+10+0], vcc, v[vgprGlobalReadAddrA+10+0], v5 // gRAA_0_0_5_0 = addrA+grOA_0_0_5_0 (lower)
_v_addc_co_u32 v[vgprGlobalReadAddrA+10+1], vcc, v[vgprGlobalReadAddrA+10+1], v6, vcc // gRAA_0_0_5_0 = addrA+grOA_0_0_5_0 (upper)
_v_add_co_u32 v[vgprGlobalReadAddrA+12+0], vcc, v[vgprGlobalReadAddrA+12+0], v5 // gRAA_0_0_6_0 = addrA+grOA_0_0_6_0 (lower)
_v_addc_co_u32 v[vgprGlobalReadAddrA+12+1], vcc, v[vgprGlobalReadAddrA+12+1], v6, vcc // gRAA_0_0_6_0 = addrA+grOA_0_0_6_0 (upper)
_v_add_co_u32 v[vgprGlobalReadAddrA+14+0], vcc, v[vgprGlobalReadAddrA+14+0], v5 // gRAA_0_0_7_0 = addrA+grOA_0_0_7_0 (lower)
_v_addc_co_u32 v[vgprGlobalReadAddrA+14+1], vcc, v[vgprGlobalReadAddrA+14+1], v6, vcc // gRAA_0_0_7_0 = addrA+grOA_0_0_7_0 (upper)


/* global read addresses: addresses b */

v_mov_b32 v5, s[sgprAddressB+0]                    // 
v_mov_b32 v6, s[sgprAddressB+1]                    // 
_v_add_co_u32 v[vgprGlobalReadAddrB+0+0], vcc, v[vgprGlobalReadAddrB+0+0], v5 // gRAB_0_0_0_0 = addrB+grOB_0_0_0_0 (lower)
_v_addc_co_u32 v[vgprGlobalReadAddrB+0+1], vcc, v[vgprGlobalReadAddrB+0+1], v6, vcc // gRAB_0_0_0_0 = addrB+grOB_0_0_0_0 (upper)
_v_add_co_u32 v[vgprGlobalReadAddrB+2+0], vcc, v[vgprGlobalReadAddrB+2+0], v5 // gRAB_0_0_1_0 = addrB+grOB_0_0_1_0 (lower)
_v_addc_co_u32 v[vgprGlobalReadAddrB+2+1], vcc, v[vgprGlobalReadAddrB+2+1], v6, vcc // gRAB_0_0_1_0 = addrB+grOB_0_0_1_0 (upper)
_v_add_co_u32 v[vgprGlobalReadAddrB+4+0], vcc, v[vgprGlobalReadAddrB+4+0], v5 // gRAB_0_0_2_0 = addrB+grOB_0_0_2_0 (lower)
_v_addc_co_u32 v[vgprGlobalReadAddrB+4+1], vcc, v[vgprGlobalReadAddrB+4+1], v6, vcc // gRAB_0_0_2_0 = addrB+grOB_0_0_2_0 (upper)
_v_add_co_u32 v[vgprGlobalReadAddrB+6+0], vcc, v[vgprGlobalReadAddrB+6+0], v5 // gRAB_0_0_3_0 = addrB+grOB_0_0_3_0 (lower)
_v_addc_co_u32 v[vgprGlobalReadAddrB+6+1], vcc, v[vgprGlobalReadAddrB+6+1], v6, vcc // gRAB_0_0_3_0 = addrB+grOB_0_0_3_0 (upper)
_v_add_co_u32 v[vgprGlobalReadAddrB+8+0], vcc, v[vgprGlobalReadAddrB+8+0], v5 // gRAB_0_0_4_0 = addrB+grOB_0_0_4_0 (lower)
_v_addc_co_u32 v[vgprGlobalReadAddrB+8+1], vcc, v[vgprGlobalReadAddrB+8+1], v6, vcc // gRAB_0_0_4_0 = addrB+grOB_0_0_4_0 (upper)
_v_add_co_u32 v[vgprGlobalReadAddrB+10+0], vcc, v[vgprGlobalReadAddrB+10+0], v5 // gRAB_0_0_5_0 = addrB+grOB_0_0_5_0 (lower)
_v_addc_co_u32 v[vgprGlobalReadAddrB+10+1], vcc, v[vgprGlobalReadAddrB+10+1], v6, vcc // gRAB_0_0_5_0 = addrB+grOB_0_0_5_0 (upper)


/* global read addresses: increments a */

s_mul_i32 s0, DepthU*4, constStrideAL              // incrAL = constStrideAL*DepthU*bpe (unrollIdx)
s_mov_b32 s1, 0x0                                  // (carry)
v_mov_b32 v[vgprGlobalReadIncsA+0+0], s0           // 
v_mov_b32 v[vgprGlobalReadIncsA+0+1], s1           // 


/* global read addresses: increments b */

s_mul_i32 s0, DepthU*4, constStrideBL              // incrBL = constStrideBL*DepthU*bpe (unrollIdx)
s_mov_b32 s1, 0x0                                  // (carry)
v_mov_b32 v[vgprGlobalReadIncsB+0+0], s0           // 
v_mov_b32 v[vgprGlobalReadIncsB+0+1], s1           // 


/******************************************/
/* Local Write Addresses                  */
/******************************************/

/* lwaTileAssignmentA = v0 */

/* lwaTileAssignmentB = v3 */

/* lwaUnrollAssignmentA = v1 */

/* lwaUnrollAssignmentB = v4 */


/* local write addresses: first offset a */

v_mul_u32_u24 v[vgprLocalWriteAddrA], 0x10, v0     // lwAL**(DepthU_Compute + PAD)
_v_add_lshl_u32 v[vgprLocalWriteAddrA], v1, v[vgprLocalWriteAddrA], 0x2 // lwFOA = (lwAA + lwAL*(DepthU+PAD))*bpe
v_lshrrev_b32 v1, 7, v[vgprLocalWriteAddrA]        // padding 2 per block 128
v_lshlrev_b32 v1, 0x3, v1                          // padding 2 per block 128
_v_add_u32 v[vgprLocalWriteAddrA], v1, v[vgprLocalWriteAddrA] // add padding 2 per block 128


/* local write addresses: first offset b */

v_mul_u32_u24 v[vgprLocalWriteAddrB], 0x10, v3     // lwBL**(DepthU_Compute + PAD)
_v_add_lshl_u32 v[vgprLocalWriteAddrB], v4, v[vgprLocalWriteAddrB], 0x2 // lwFOB = (lwBB + lwBL*(DepthU+PAD))*bpe
v_lshrrev_b32 v4, 7, v[vgprLocalWriteAddrB]        // padding 2 per block 128
v_lshlrev_b32 v4, 0x3, v4                          // padding 2 per block 128
_v_add_u32 v[vgprLocalWriteAddrB], v4, v[vgprLocalWriteAddrB] // add padding 2 per block 128
_v_add_co_u32 v[vgprLocalWriteAddrB], vcc, 0x2200, v[vgprLocalWriteAddrB] // lwFOB = lwB1J + lwBL*MT1J + LDS_OFFSET_B=2176*4


	;; [unrolled: 1-line block ×7, first 2 shown]
/* declare loop num iterations */


s_lshr_b32 s[sgprLoopCounterL], s[sgprSizesSum+0], 4 // s[sgprLoopCounterL] = s[sgprSizesSum+0] / 16
s_mov_b32 s[sgprOrigLoopCounter], s[sgprLoopCounterL] // copy loop counter

/* local read addresses: init pointers a */


/* localReadInitPointers */

/* local read addresses: init pointers b */


/* localReadInitPointers */


/* prefetch: global -> local */

s_cmp_eq_u32 s[sgprLoopCounterL], 0                // at last iteration?
s_cbranch_scc1 ShadowInitStart_10                  // skip to ShadowInitStart iter b/c numIter==0


_global_load_b32 v[vgprG2LA+0], v[vgprGlobalReadAddrA+0:vgprGlobalReadAddrA+0+1], off, offset:0 // G -> Reg 0_0_0_0
_global_load_b32 v[vgprG2LA+1], v[vgprGlobalReadAddrA+2:vgprGlobalReadAddrA+2+1], off, offset:0 // G -> Reg 0_0_1_0
_global_load_b32 v[vgprG2LA+2], v[vgprGlobalReadAddrA+4:vgprGlobalReadAddrA+4+1], off, offset:0 // G -> Reg 0_0_2_0
_global_load_b32 v[vgprG2LA+3], v[vgprGlobalReadAddrA+6:vgprGlobalReadAddrA+6+1], off, offset:0 // G -> Reg 0_0_3_0
_global_load_b32 v[vgprG2LA+4], v[vgprGlobalReadAddrA+8:vgprGlobalReadAddrA+8+1], off, offset:0 // G -> Reg 0_0_4_0
_global_load_b32 v[vgprG2LA+5], v[vgprGlobalReadAddrA+10:vgprGlobalReadAddrA+10+1], off, offset:0 // G -> Reg 0_0_5_0
_global_load_b32 v[vgprG2LA+6], v[vgprGlobalReadAddrA+12:vgprGlobalReadAddrA+12+1], off, offset:0 // G -> Reg 0_0_6_0
_global_load_b32 v[vgprG2LA+7], v[vgprGlobalReadAddrA+14:vgprGlobalReadAddrA+14+1], off, offset:0 // G -> Reg 0_0_7_0


_global_load_b32 v[vgprG2LB+0], v[vgprGlobalReadAddrB+0:vgprGlobalReadAddrB+0+1], off, offset:0 // G -> Reg 0_0_0_0
_global_load_b32 v[vgprG2LB+1], v[vgprGlobalReadAddrB+2:vgprGlobalReadAddrB+2+1], off, offset:0 // G -> Reg 0_0_1_0
_global_load_b32 v[vgprG2LB+2], v[vgprGlobalReadAddrB+4:vgprGlobalReadAddrB+4+1], off, offset:0 // G -> Reg 0_0_2_0
_global_load_b32 v[vgprG2LB+3], v[vgprGlobalReadAddrB+6:vgprGlobalReadAddrB+6+1], off, offset:0 // G -> Reg 0_0_3_0
_global_load_b32 v[vgprG2LB+4], v[vgprGlobalReadAddrB+8:vgprGlobalReadAddrB+8+1], off, offset:0 // G -> Reg 0_0_4_0
_global_load_b32 v[vgprG2LB+5], v[vgprGlobalReadAddrB+10:vgprGlobalReadAddrB+10+1], off, offset:0 // G -> Reg 0_0_5_0


/* global read inc A loopL */
_v_add_co_u32  v[vgprGlobalReadAddrA+0+0], vcc, v[vgprGlobalReadAddrA+0+0], v[vgprGlobalReadIncsA+0+0] // gra += incAL (lower)
_v_addc_co_u32 v[vgprGlobalReadAddrA+0+1], vcc, v[vgprGlobalReadAddrA+0+1], v[vgprGlobalReadIncsA+0+1], vcc // gra += incAL (upper)
_v_add_co_u32  v[vgprGlobalReadAddrA+2+0], vcc, v[vgprGlobalReadAddrA+2+0], v[vgprGlobalReadIncsA+0+0] // gra += incAL (lower)
_v_addc_co_u32 v[vgprGlobalReadAddrA+2+1], vcc, v[vgprGlobalReadAddrA+2+1], v[vgprGlobalReadIncsA+0+1], vcc // gra += incAL (upper)
	;; [unrolled: 2-line block ×8, first 2 shown]

/* global read inc B loopL */
_v_add_co_u32  v[vgprGlobalReadAddrB+0+0], vcc, v[vgprGlobalReadAddrB+0+0], v[vgprGlobalReadIncsB+0+0] // gra += incBL (lower)
_v_addc_co_u32 v[vgprGlobalReadAddrB+0+1], vcc, v[vgprGlobalReadAddrB+0+1], v[vgprGlobalReadIncsB+0+1], vcc // gra += incBL (upper)
_v_add_co_u32  v[vgprGlobalReadAddrB+2+0], vcc, v[vgprGlobalReadAddrB+2+0], v[vgprGlobalReadIncsB+0+0] // gra += incBL (lower)
_v_addc_co_u32 v[vgprGlobalReadAddrB+2+1], vcc, v[vgprGlobalReadAddrB+2+1], v[vgprGlobalReadIncsB+0+1], vcc // gra += incBL (upper)
	;; [unrolled: 2-line block ×6, first 2 shown]


/******************************************/
/* End setupNewTile, isPap=False             */
/******************************************/

ShadowInitStart_10: // 


	;; [unrolled: 1-line block ×3, first 2 shown]
/* initC: remove C-tile 0-48 from pool */

/* initC: remove AB-tile 48-80 from pool */
v_mov_b32 v[vgprValuC+0], 0x0                      // initC
v_mov_b32 v[vgprValuC+1], 0x0                      // initC
	;; [unrolled: 1-line block ×10, first 2 shown]
v_mov_b32 v[vgprValuC+10], 0x0                     // initC
v_mov_b32 v[vgprValuC+11], 0x0                     // initC
	;; [unrolled: 1-line block ×38, first 2 shown]

s_cmp_eq_u32 s[sgprLoopCounterL], 0                // at last iteration?

/* after InitC, skip to end of prefetch last iter if numIter==0 */
s_cbranch_scc0 label_NoBranch_11                   // Only branch on scc1
s_getpc_B64 s[40:41]                               // addr of next instr
s_add_i32 s42, PrefetchGlobalLastIterEnd_5, 0x4    // target branch offset
s_add_u32 s40, s40, s42                            // add target branch offset
s_addc_u32 s41, s41, 0                             // add high and carry
s_setpc_b64 s[40:41]                               // branch to PrefetchGlobalLastIterEnd_5
label_NoBranch_11:

s_waitcnt vmcnt(0)                                 // lgkmcnt=-1 vmcnt=0 8wait for global read


/* local write a */
_ds_store_b32 v[vgprLocalWriteAddrA], v[vgprG2LA+0] offset:0 // lwoA_0_0_0_0 = (0*LSCA)*(MT0I+PAD) + (0*LSPA) = 0
_ds_store_b32 v[vgprLocalWriteAddrA], v[vgprG2LA+1] offset:1088 // lwoA_0_0_1_0 = (0*LSCA)*(MT0I+PAD) + (1*LSPA) = 1088
_ds_store_b32 v[vgprLocalWriteAddrA], v[vgprG2LA+2] offset:2176 // lwoA_0_0_2_0 = (0*LSCA)*(MT0I+PAD) + (2*LSPA) = 2176
_ds_store_b32 v[vgprLocalWriteAddrA], v[vgprG2LA+3] offset:3264 // lwoA_0_0_3_0 = (0*LSCA)*(MT0I+PAD) + (3*LSPA) = 3264
_ds_store_b32 v[vgprLocalWriteAddrA], v[vgprG2LA+4] offset:4352 // lwoA_0_0_4_0 = (0*LSCA)*(MT0I+PAD) + (4*LSPA) = 4352
_ds_store_b32 v[vgprLocalWriteAddrA], v[vgprG2LA+5] offset:5440 // lwoA_0_0_5_0 = (0*LSCA)*(MT0I+PAD) + (5*LSPA) = 5440
_ds_store_b32 v[vgprLocalWriteAddrA], v[vgprG2LA+6] offset:6528 // lwoA_0_0_6_0 = (0*LSCA)*(MT0I+PAD) + (6*LSPA) = 6528
_ds_store_b32 v[vgprLocalWriteAddrA], v[vgprG2LA+7] offset:7616 // lwoA_0_0_7_0 = (0*LSCA)*(MT0I+PAD) + (7*LSPA) = 7616

/* local write b */
_ds_store_b32 v[vgprLocalWriteAddrB], v[vgprG2LB+0] offset:0 // lwoB_0_0_0_0 = (0*LSCB)*(MT1J+PAD) + (0*LSPB) = 0
_ds_store_b32 v[vgprLocalWriteAddrB], v[vgprG2LB+1] offset:1088 // lwoB_0_0_1_0 = (0*LSCB)*(MT1J+PAD) + (1*LSPB) = 1088
_ds_store_b32 v[vgprLocalWriteAddrB], v[vgprG2LB+2] offset:2176 // lwoB_0_0_2_0 = (0*LSCB)*(MT1J+PAD) + (2*LSPB) = 2176
_ds_store_b32 v[vgprLocalWriteAddrB], v[vgprG2LB+3] offset:3264 // lwoB_0_0_3_0 = (0*LSCB)*(MT1J+PAD) + (3*LSPB) = 3264
_ds_store_b32 v[vgprLocalWriteAddrB], v[vgprG2LB+4] offset:4352 // lwoB_0_0_4_0 = (0*LSCB)*(MT1J+PAD) + (4*LSPB) = 4352
_ds_store_b32 v[vgprLocalWriteAddrB], v[vgprG2LB+5] offset:5440 // lwoB_0_0_5_0 = (0*LSCB)*(MT1J+PAD) + (5*LSPB) = 5440


/* local write swap a */


	;; [unrolled: 1-line block ×3, first 2 shown]
/* local write swap b */


	;; [unrolled: 1-line block ×4, first 2 shown]
s_cmp_eq_u32 s[sgprLoopCounterL] 0x1               // PGR=2 but only 1 loop
s_cbranch_scc1 label_0012                          // PGR=2 but only 1 loop


_global_load_b32 v[vgprG2LA+0], v[vgprGlobalReadAddrA+0:vgprGlobalReadAddrA+0+1], off, offset:0 // G -> Reg 0_0_0_0
_global_load_b32 v[vgprG2LA+1], v[vgprGlobalReadAddrA+2:vgprGlobalReadAddrA+2+1], off, offset:0 // G -> Reg 0_0_1_0
_global_load_b32 v[vgprG2LA+2], v[vgprGlobalReadAddrA+4:vgprGlobalReadAddrA+4+1], off, offset:0 // G -> Reg 0_0_2_0
_global_load_b32 v[vgprG2LA+3], v[vgprGlobalReadAddrA+6:vgprGlobalReadAddrA+6+1], off, offset:0 // G -> Reg 0_0_3_0
_global_load_b32 v[vgprG2LA+4], v[vgprGlobalReadAddrA+8:vgprGlobalReadAddrA+8+1], off, offset:0 // G -> Reg 0_0_4_0
_global_load_b32 v[vgprG2LA+5], v[vgprGlobalReadAddrA+10:vgprGlobalReadAddrA+10+1], off, offset:0 // G -> Reg 0_0_5_0
_global_load_b32 v[vgprG2LA+6], v[vgprGlobalReadAddrA+12:vgprGlobalReadAddrA+12+1], off, offset:0 // G -> Reg 0_0_6_0
_global_load_b32 v[vgprG2LA+7], v[vgprGlobalReadAddrA+14:vgprGlobalReadAddrA+14+1], off, offset:0 // G -> Reg 0_0_7_0


_global_load_b32 v[vgprG2LB+0], v[vgprGlobalReadAddrB+0:vgprGlobalReadAddrB+0+1], off, offset:0 // G -> Reg 0_0_0_0
_global_load_b32 v[vgprG2LB+1], v[vgprGlobalReadAddrB+2:vgprGlobalReadAddrB+2+1], off, offset:0 // G -> Reg 0_0_1_0
_global_load_b32 v[vgprG2LB+2], v[vgprGlobalReadAddrB+4:vgprGlobalReadAddrB+4+1], off, offset:0 // G -> Reg 0_0_2_0
_global_load_b32 v[vgprG2LB+3], v[vgprGlobalReadAddrB+6:vgprGlobalReadAddrB+6+1], off, offset:0 // G -> Reg 0_0_3_0
_global_load_b32 v[vgprG2LB+4], v[vgprGlobalReadAddrB+8:vgprGlobalReadAddrB+8+1], off, offset:0 // G -> Reg 0_0_4_0
_global_load_b32 v[vgprG2LB+5], v[vgprGlobalReadAddrB+10:vgprGlobalReadAddrB+10+1], off, offset:0 // G -> Reg 0_0_5_0

label_0012:                                        // 

s_waitcnt lgkmcnt(0)                               // lgkmcnt=0 vmcnt=-10prefetch wait for local write

// Skip force waitcnt0
s_barrier //


/* local read prefetch a */

_ds_load_b32 v[vgprValuA_X0_I0+0], v[vgprLocalReadAddrA] offset:0 // L -> Reg lro=0 swapByteOffset=0 ti=64 vIdx=0 rIdx=0 oIdx=0 buffer=0 iui=0
_ds_load_b32 v[vgprValuA_X0_I0+1], v[vgprLocalReadAddrA] offset:4352 // L -> Reg lro=0 swapByteOffset=0 ti=64 vIdx=1 rIdx=0 oIdx=0 buffer=0 iui=0


/* local read prefetch b */

_ds_load_b32 v[vgprValuB_X0_I0+0], v[vgprLocalReadAddrB] offset:0 // L -> Reg lro=0 swapByteOffset=0 ti=16 vIdx=0 rIdx=0 oIdx=0 buffer=0 iui=0
_ds_load_b32 v[vgprValuB_X0_I0+1], v[vgprLocalReadAddrB] offset:1088 // L -> Reg lro=0 swapByteOffset=0 ti=16 vIdx=1 rIdx=0 oIdx=0 buffer=0 iui=0
	;; [unrolled: 1-line block ×6, first 2 shown]


/* local read inc a */

/* N/A, lro->4 */
/* self.localReadDoCntA 1 self.localReadDoCntB 1 */


/* local read inc b */

/* N/A, lro->4 */
/* self.localReadDoCntA 1 self.localReadDoCntB 1 */


	;; [unrolled: 1-line block ×3, first 2 shown]
/******************************************/
/* Unrolled Loop(s) - Begin               */
/******************************************/

openLoopL_13:
s_cmp_eq_u32 s[sgprLoopCounterL], 0x1              // LoopCounterL < EndCounter
s_cbranch_scc1 label_0014                          // PGR=2 but only 1 loop, toPGR1
s_cmp_le_u32 s[sgprLoopCounterL], 0x2              // LoopCounterL < EndCounter
s_cbranch_scc1 LoopEndL_2                          // do not enter LoopL
LoopBeginL_1:


/******************************************/
/* Unrolled Loop 1/1 - Begin              */
/******************************************/

label_0015: // LoopCopy1 


/* Begin Each Unroll: Check VGPR.checkin for INT8 LW */


	;; [unrolled: 1-line block ×3, first 2 shown]
/* iter 0 */

/*  grEndMfmaIndex:10, lwStartMfmaIndex:15, lwEndMfmaIndex:40  */
/*  numMfmaForLR:5, barrierMfmaIndex:42, LocalWritePerMfma:0.540 */
/*  mfmaIndex:0  */
s_waitcnt lgkmcnt(0)                               // lgkmcnt=0 vmcnt=-1wait for prior local read local write old=0, new=0 newLW=0 newLR=0
v_mfma_f32_16x16x4f32 v[0+0:3+0], v[vgprValuB_X0_I0+0+0+0], v[vgprValuA_X0_I0+0+0+0], v[0:3]
/*  mfmaIndex:1  */
_ds_load_b32 v[vgprValuA_X1_I0+0], v[vgprLocalReadAddrA] offset:16 // L -> Reg lro=4 swapByteOffset=0 ti=64 vIdx=0 rIdx=0 oIdx=0 buffer=1 iui=0
_ds_load_b32 v[vgprValuB_X1_I0+0], v[vgprLocalReadAddrB] offset:16 // L -> Reg lro=4 swapByteOffset=0 ti=16 vIdx=0 rIdx=0 oIdx=0 buffer=1 iui=0

/* global read inc A loopL */
_v_add_co_u32  v[vgprGlobalReadAddrA+0+0], vcc, v[vgprGlobalReadAddrA+0+0], v[vgprGlobalReadIncsA+0+0] // gra += incAL (lower)
_v_addc_co_u32 v[vgprGlobalReadAddrA+0+1], vcc, v[vgprGlobalReadAddrA+0+1], v[vgprGlobalReadIncsA+0+1], vcc // gra += incAL (upper)
_v_add_co_u32  v[vgprGlobalReadAddrA+2+0], vcc, v[vgprGlobalReadAddrA+2+0], v[vgprGlobalReadIncsA+0+0] // gra += incAL (lower)
v_mfma_f32_16x16x4f32 v[4+0:7+0], v[vgprValuB_X0_I0+0+0+0], v[vgprValuA_X0_I0+1+0+0], v[4:7]
/*  mfmaIndex:2  */
_ds_load_b32 v[vgprValuA_X1_I0+1], v[vgprLocalReadAddrA] offset:4368 // L -> Reg lro=4 swapByteOffset=0 ti=64 vIdx=1 rIdx=0 oIdx=0 buffer=1 iui=0
_ds_load_b32 v[vgprValuB_X1_I0+1], v[vgprLocalReadAddrB] offset:1104 // L -> Reg lro=4 swapByteOffset=0 ti=16 vIdx=1 rIdx=0 oIdx=0 buffer=1 iui=0
_v_addc_co_u32 v[vgprGlobalReadAddrA+2+1], vcc, v[vgprGlobalReadAddrA+2+1], v[vgprGlobalReadIncsA+0+1], vcc // gra += incAL (upper)
_v_add_co_u32  v[vgprGlobalReadAddrA+4+0], vcc, v[vgprGlobalReadAddrA+4+0], v[vgprGlobalReadIncsA+0+0] // gra += incAL (lower)
_v_addc_co_u32 v[vgprGlobalReadAddrA+4+1], vcc, v[vgprGlobalReadAddrA+4+1], v[vgprGlobalReadIncsA+0+1], vcc // gra += incAL (upper)
v_mfma_f32_16x16x4f32 v[12+0:15+0], v[vgprValuB_X0_I0+1+0+0], v[vgprValuA_X0_I0+1+0+0], v[12:15]
/*  mfmaIndex:3  */
_ds_load_b32 v[vgprValuB_X1_I0+2], v[vgprLocalReadAddrB] offset:2192 // L -> Reg lro=4 swapByteOffset=0 ti=16 vIdx=2 rIdx=0 oIdx=0 buffer=1 iui=0
_ds_load_b32 v[vgprValuB_X1_I0+3], v[vgprLocalReadAddrB] offset:3280 // L -> Reg lro=4 swapByteOffset=0 ti=16 vIdx=3 rIdx=0 oIdx=0 buffer=1 iui=0
_v_add_co_u32  v[vgprGlobalReadAddrA+6+0], vcc, v[vgprGlobalReadAddrA+6+0], v[vgprGlobalReadIncsA+0+0] // gra += incAL (lower)
_v_addc_co_u32 v[vgprGlobalReadAddrA+6+1], vcc, v[vgprGlobalReadAddrA+6+1], v[vgprGlobalReadIncsA+0+1], vcc // gra += incAL (upper)
_v_add_co_u32  v[vgprGlobalReadAddrA+8+0], vcc, v[vgprGlobalReadAddrA+8+0], v[vgprGlobalReadIncsA+0+0] // gra += incAL (lower)
v_mfma_f32_16x16x4f32 v[8+0:11+0], v[vgprValuB_X0_I0+1+0+0], v[vgprValuA_X0_I0+0+0+0], v[8:11]
/*  mfmaIndex:4  */
_ds_load_b32 v[vgprValuB_X1_I0+4], v[vgprLocalReadAddrB] offset:4368 // L -> Reg lro=4 swapByteOffset=0 ti=16 vIdx=4 rIdx=0 oIdx=0 buffer=1 iui=0
_ds_load_b32 v[vgprValuB_X1_I0+5], v[vgprLocalReadAddrB] offset:5456 // L -> Reg lro=4 swapByteOffset=0 ti=16 vIdx=5 rIdx=0 oIdx=0 buffer=1 iui=0
/* localReadsVacancy: latencyLeft 1 */
_v_addc_co_u32 v[vgprGlobalReadAddrA+8+1], vcc, v[vgprGlobalReadAddrA+8+1], v[vgprGlobalReadIncsA+0+1], vcc // gra += incAL (upper)
_v_add_co_u32  v[vgprGlobalReadAddrA+10+0], vcc, v[vgprGlobalReadAddrA+10+0], v[vgprGlobalReadIncsA+0+0] // gra += incAL (lower)
_v_addc_co_u32 v[vgprGlobalReadAddrA+10+1], vcc, v[vgprGlobalReadAddrA+10+1], v[vgprGlobalReadIncsA+0+1], vcc // gra += incAL (upper)
v_mfma_f32_16x16x4f32 v[16+0:19+0], v[vgprValuB_X0_I0+2+0+0], v[vgprValuA_X0_I0+0+0+0], v[16:19]
/*  mfmaIndex:5  */
/* localReadsVacancy: latencyLeft 5 */
_ds_load_b32 v[vgprValuA_X2_I0+0], v[vgprLocalReadAddrA] offset:32 // L -> Reg lro=8 swapByteOffset=0 ti=64 vIdx=0 rIdx=0 oIdx=0 buffer=2 iui=0
_ds_load_b32 v[vgprValuB_X2_I0+0], v[vgprLocalReadAddrB] offset:32 // L -> Reg lro=8 swapByteOffset=0 ti=16 vIdx=0 rIdx=0 oIdx=0 buffer=2 iui=0
_v_add_co_u32  v[vgprGlobalReadAddrA+12+0], vcc, v[vgprGlobalReadAddrA+12+0], v[vgprGlobalReadIncsA+0+0] // gra += incAL (lower)
_v_addc_co_u32 v[vgprGlobalReadAddrA+12+1], vcc, v[vgprGlobalReadAddrA+12+1], v[vgprGlobalReadIncsA+0+1], vcc // gra += incAL (upper)
_v_add_co_u32  v[vgprGlobalReadAddrA+14+0], vcc, v[vgprGlobalReadAddrA+14+0], v[vgprGlobalReadIncsA+0+0] // gra += incAL (lower)
v_mfma_f32_16x16x4f32 v[20+0:23+0], v[vgprValuB_X0_I0+2+0+0], v[vgprValuA_X0_I0+1+0+0], v[20:23]
/*  mfmaIndex:6  */
/* localReadsVacancy: latencyLeft 5 */
_ds_load_b32 v[vgprValuA_X2_I0+1], v[vgprLocalReadAddrA] offset:4384 // L -> Reg lro=8 swapByteOffset=0 ti=64 vIdx=1 rIdx=0 oIdx=0 buffer=2 iui=0
_ds_load_b32 v[vgprValuB_X2_I0+1], v[vgprLocalReadAddrB] offset:1120 // L -> Reg lro=8 swapByteOffset=0 ti=16 vIdx=1 rIdx=0 oIdx=0 buffer=2 iui=0
_v_addc_co_u32 v[vgprGlobalReadAddrA+14+1], vcc, v[vgprGlobalReadAddrA+14+1], v[vgprGlobalReadIncsA+0+1], vcc // gra += incAL (upper)

/* global read inc B loopL */
_v_add_co_u32  v[vgprGlobalReadAddrB+0+0], vcc, v[vgprGlobalReadAddrB+0+0], v[vgprGlobalReadIncsB+0+0] // gra += incBL (lower)
_v_addc_co_u32 v[vgprGlobalReadAddrB+0+1], vcc, v[vgprGlobalReadAddrB+0+1], v[vgprGlobalReadIncsB+0+1], vcc // gra += incBL (upper)
v_mfma_f32_16x16x4f32 v[28+0:31+0], v[vgprValuB_X0_I0+3+0+0], v[vgprValuA_X0_I0+1+0+0], v[28:31]
/*  mfmaIndex:7  */
/* localReadsVacancy: latencyLeft 5 */
_ds_load_b32 v[vgprValuB_X2_I0+2], v[vgprLocalReadAddrB] offset:2208 // L -> Reg lro=8 swapByteOffset=0 ti=16 vIdx=2 rIdx=0 oIdx=0 buffer=2 iui=0
_ds_load_b32 v[vgprValuB_X2_I0+3], v[vgprLocalReadAddrB] offset:3296 // L -> Reg lro=8 swapByteOffset=0 ti=16 vIdx=3 rIdx=0 oIdx=0 buffer=2 iui=0
_v_add_co_u32  v[vgprGlobalReadAddrB+2+0], vcc, v[vgprGlobalReadAddrB+2+0], v[vgprGlobalReadIncsB+0+0] // gra += incBL (lower)
_v_addc_co_u32 v[vgprGlobalReadAddrB+2+1], vcc, v[vgprGlobalReadAddrB+2+1], v[vgprGlobalReadIncsB+0+1], vcc // gra += incBL (upper)
_v_add_co_u32  v[vgprGlobalReadAddrB+4+0], vcc, v[vgprGlobalReadAddrB+4+0], v[vgprGlobalReadIncsB+0+0] // gra += incBL (lower)
v_mfma_f32_16x16x4f32 v[24+0:27+0], v[vgprValuB_X0_I0+3+0+0], v[vgprValuA_X0_I0+0+0+0], v[24:27]
/*  mfmaIndex:8  */
/* localReadsVacancy: latencyLeft 5 */
_ds_load_b32 v[vgprValuB_X2_I0+4], v[vgprLocalReadAddrB] offset:4384 // L -> Reg lro=8 swapByteOffset=0 ti=16 vIdx=4 rIdx=0 oIdx=0 buffer=2 iui=0
_ds_load_b32 v[vgprValuB_X2_I0+5], v[vgprLocalReadAddrB] offset:5472 // L -> Reg lro=8 swapByteOffset=0 ti=16 vIdx=5 rIdx=0 oIdx=0 buffer=2 iui=0
_v_addc_co_u32 v[vgprGlobalReadAddrB+4+1], vcc, v[vgprGlobalReadAddrB+4+1], v[vgprGlobalReadIncsB+0+1], vcc // gra += incBL (upper)
_v_add_co_u32  v[vgprGlobalReadAddrB+6+0], vcc, v[vgprGlobalReadAddrB+6+0], v[vgprGlobalReadIncsB+0+0] // gra += incBL (lower)
_v_addc_co_u32 v[vgprGlobalReadAddrB+6+1], vcc, v[vgprGlobalReadAddrB+6+1], v[vgprGlobalReadIncsB+0+1], vcc // gra += incBL (upper)
v_mfma_f32_16x16x4f32 v[32+0:35+0], v[vgprValuB_X0_I0+4+0+0], v[vgprValuA_X0_I0+0+0+0], v[32:35]
/*  mfmaIndex:9  */
/* localReadsVacancy: latencyLeft 5 */
_ds_load_b32 v[vgprValuA_X3_I0+0], v[vgprLocalReadAddrA] offset:48 // L -> Reg lro=12 swapByteOffset=0 ti=64 vIdx=0 rIdx=0 oIdx=0 buffer=3 iui=0
_ds_load_b32 v[vgprValuB_X3_I0+0], v[vgprLocalReadAddrB] offset:48 // L -> Reg lro=12 swapByteOffset=0 ti=16 vIdx=0 rIdx=0 oIdx=0 buffer=3 iui=0
_v_add_co_u32  v[vgprGlobalReadAddrB+8+0], vcc, v[vgprGlobalReadAddrB+8+0], v[vgprGlobalReadIncsB+0+0] // gra += incBL (lower)
_v_addc_co_u32 v[vgprGlobalReadAddrB+8+1], vcc, v[vgprGlobalReadAddrB+8+1], v[vgprGlobalReadIncsB+0+1], vcc // gra += incBL (upper)
_v_add_co_u32  v[vgprGlobalReadAddrB+10+0], vcc, v[vgprGlobalReadAddrB+10+0], v[vgprGlobalReadIncsB+0+0] // gra += incBL (lower)
v_mfma_f32_16x16x4f32 v[36+0:39+0], v[vgprValuB_X0_I0+4+0+0], v[vgprValuA_X0_I0+1+0+0], v[36:39]
/*  mfmaIndex:10  */
/* localReadsVacancy: latencyLeft 5 */
_ds_load_b32 v[vgprValuA_X3_I0+1], v[vgprLocalReadAddrA] offset:4400 // L -> Reg lro=12 swapByteOffset=0 ti=64 vIdx=1 rIdx=0 oIdx=0 buffer=3 iui=0
_ds_load_b32 v[vgprValuB_X3_I0+1], v[vgprLocalReadAddrB] offset:1136 // L -> Reg lro=12 swapByteOffset=0 ti=16 vIdx=1 rIdx=0 oIdx=0 buffer=3 iui=0
_v_addc_co_u32 v[vgprGlobalReadAddrB+10+1], vcc, v[vgprGlobalReadAddrB+10+1], v[vgprGlobalReadIncsB+0+1], vcc // gra += incBL (upper)
v_mfma_f32_16x16x4f32 v[44+0:47+0], v[vgprValuB_X0_I0+5+0+0], v[vgprValuA_X0_I0+1+0+0], v[44:47]
/*  mfmaIndex:11  */
/* localReadsVacancy: latencyLeft 5 */
_ds_load_b32 v[vgprValuB_X3_I0+2], v[vgprLocalReadAddrB] offset:2224 // L -> Reg lro=12 swapByteOffset=0 ti=16 vIdx=2 rIdx=0 oIdx=0 buffer=3 iui=0
_ds_load_b32 v[vgprValuB_X3_I0+3], v[vgprLocalReadAddrB] offset:3312 // L -> Reg lro=12 swapByteOffset=0 ti=16 vIdx=3 rIdx=0 oIdx=0 buffer=3 iui=0
v_mfma_f32_16x16x4f32 v[40+0:43+0], v[vgprValuB_X0_I0+5+0+0], v[vgprValuA_X0_I0+0+0+0], v[40:43]
/* numPrefetchIter=0 */
/* dataAtIterA=-1 numReadsIterA=1 skipReadsIterA=1 readsPerIterA=2 */
/* dataAtIterB=-1 numReadsIterB=1 skipReadsIterB=1 readsPerIterB=6 */


/* iter 1 */

/*  grEndMfmaIndex:10, lwStartMfmaIndex:15, lwEndMfmaIndex:40  */
/*  numMfmaForLR:5, barrierMfmaIndex:42, LocalWritePerMfma:0.540 */
/*  mfmaIndex:12  */
/* localReadsVacancy: latencyLeft 5 */
_ds_load_b32 v[vgprValuB_X3_I0+4], v[vgprLocalReadAddrB] offset:4400 // L -> Reg lro=12 swapByteOffset=0 ti=16 vIdx=4 rIdx=0 oIdx=0 buffer=3 iui=0
_ds_load_b32 v[vgprValuB_X3_I0+5], v[vgprLocalReadAddrB] offset:5488 // L -> Reg lro=12 swapByteOffset=0 ti=16 vIdx=5 rIdx=0 oIdx=0 buffer=3 iui=0
s_waitcnt lgkmcnt(15)                              // lgkmcnt=0 vmcnt=-1wait for prior local read local write old=8, new=8 newLW=0 newLR=0
v_mfma_f32_16x16x4f32 v[0+0:3+0], v[vgprValuB_X1_I0+0+0+0], v[vgprValuA_X1_I0+0+0+0], v[0:3]
/*  mfmaIndex:13  */
/* localReadsVacancy: latencyLeft 5 */
v_mfma_f32_16x16x4f32 v[4+0:7+0], v[vgprValuB_X1_I0+0+0+0], v[vgprValuA_X1_I0+1+0+0], v[4:7]
/*  mfmaIndex:14  */
/* localReadsVacancy: latencyLeft 5 */
/* 1 LDS buffer: read-sync-write */
s_waitcnt lgkmcnt(0)                               // 
s_barrier                                          // 
v_mfma_f32_16x16x4f32 v[12+0:15+0], v[vgprValuB_X1_I0+1+0+0], v[vgprValuA_X1_I0+1+0+0], v[12:15]
/*  mfmaIndex:15  */
/* localReadsVacancy: latencyLeft 1 */
/* sched write - iter 1 writesPerItem=1 */
s_waitcnt vmcnt(0)                                 // lgkmcnt=-1 vmcnt=0wait for global read before writing to local
_ds_store_b32 v[vgprLocalWriteAddrA], v[vgprG2LA+0] offset:0 // lwoA_0_0_0_0 = (0*LSCA)*(MT0I+PAD) + (0*LSPA) = 0
v_mfma_f32_16x16x4f32 v[8+0:11+0], v[vgprValuB_X1_I0+1+0+0], v[vgprValuA_X1_I0+0+0+0], v[8:11]
/*  mfmaIndex:16  */
_global_load_b32 v[vgprG2LA+0], v[vgprGlobalReadAddrA+0:vgprGlobalReadAddrA+0+1], off, offset:0 // G -> Reg 0_0_0_0
/* sched write - iter 1 writesPerItem=1 */
s_waitcnt vmcnt(0)                                 // lgkmcnt=-1 vmcnt=0wait for global read before writing to local
_ds_store_b32 v[vgprLocalWriteAddrA], v[vgprG2LA+1] offset:1088 // lwoA_0_0_1_0 = (0*LSCA)*(MT0I+PAD) + (1*LSPA) = 1088
v_mfma_f32_16x16x4f32 v[16+0:19+0], v[vgprValuB_X1_I0+2+0+0], v[vgprValuA_X1_I0+0+0+0], v[16:19]
/*  mfmaIndex:17  */
_global_load_b32 v[vgprG2LA+1], v[vgprGlobalReadAddrA+2:vgprGlobalReadAddrA+2+1], off, offset:0 // G -> Reg 0_0_1_0
v_mfma_f32_16x16x4f32 v[20+0:23+0], v[vgprValuB_X1_I0+2+0+0], v[vgprValuA_X1_I0+1+0+0], v[20:23]
/*  mfmaIndex:18  */
/* sched write - iter 1 writesPerItem=1 */
s_waitcnt vmcnt(0)                                 // lgkmcnt=-1 vmcnt=0wait for global read before writing to local
_ds_store_b32 v[vgprLocalWriteAddrA], v[vgprG2LA+2] offset:2176 // lwoA_0_0_2_0 = (0*LSCA)*(MT0I+PAD) + (2*LSPA) = 2176
v_mfma_f32_16x16x4f32 v[28+0:31+0], v[vgprValuB_X1_I0+3+0+0], v[vgprValuA_X1_I0+1+0+0], v[28:31]
/*  mfmaIndex:19  */
_global_load_b32 v[vgprG2LA+2], v[vgprGlobalReadAddrA+4:vgprGlobalReadAddrA+4+1], off, offset:0 // G -> Reg 0_0_2_0
v_mfma_f32_16x16x4f32 v[24+0:27+0], v[vgprValuB_X1_I0+3+0+0], v[vgprValuA_X1_I0+0+0+0], v[24:27]
/*  mfmaIndex:20  */
/* sched write - iter 1 writesPerItem=1 */
s_waitcnt vmcnt(0)                                 // lgkmcnt=-1 vmcnt=0wait for global read before writing to local
_ds_store_b32 v[vgprLocalWriteAddrA], v[vgprG2LA+3] offset:3264 // lwoA_0_0_3_0 = (0*LSCA)*(MT0I+PAD) + (3*LSPA) = 3264
v_mfma_f32_16x16x4f32 v[32+0:35+0], v[vgprValuB_X1_I0+4+0+0], v[vgprValuA_X1_I0+0+0+0], v[32:35]
/*  mfmaIndex:21  */
_global_load_b32 v[vgprG2LA+3], v[vgprGlobalReadAddrA+6:vgprGlobalReadAddrA+6+1], off, offset:0 // G -> Reg 0_0_3_0
v_mfma_f32_16x16x4f32 v[36+0:39+0], v[vgprValuB_X1_I0+4+0+0], v[vgprValuA_X1_I0+1+0+0], v[36:39]
/*  mfmaIndex:22  */
/* sched write - iter 1 writesPerItem=1 */
s_waitcnt vmcnt(0)                                 // lgkmcnt=-1 vmcnt=0wait for global read before writing to local
_ds_store_b32 v[vgprLocalWriteAddrA], v[vgprG2LA+4] offset:4352 // lwoA_0_0_4_0 = (0*LSCA)*(MT0I+PAD) + (4*LSPA) = 4352
v_mfma_f32_16x16x4f32 v[44+0:47+0], v[vgprValuB_X1_I0+5+0+0], v[vgprValuA_X1_I0+1+0+0], v[44:47]
/*  mfmaIndex:23  */
_global_load_b32 v[vgprG2LA+4], v[vgprGlobalReadAddrA+8:vgprGlobalReadAddrA+8+1], off, offset:0 // G -> Reg 0_0_4_0
v_mfma_f32_16x16x4f32 v[40+0:43+0], v[vgprValuB_X1_I0+5+0+0], v[vgprValuA_X1_I0+0+0+0], v[40:43]
/* numPrefetchIter=0 */
/* dataAtIterA=0 numReadsIterA=2 skipReadsIterA=1 readsPerIterA=2 */
/* dataAtIterB=0 numReadsIterB=2 skipReadsIterB=1 readsPerIterB=6 */


/* iter 2 (reset local read pointers iteration)  (swap local read pointers iteration)  */

/*  grEndMfmaIndex:10, lwStartMfmaIndex:15, lwEndMfmaIndex:40  */
/*  numMfmaForLR:5, barrierMfmaIndex:42, LocalWritePerMfma:0.540 */
/*  mfmaIndex:24  */
/* sched write - iter 2 writesPerItem=1 */
s_waitcnt vmcnt(0)                                 // lgkmcnt=-1 vmcnt=0wait for global read before writing to local
_ds_store_b32 v[vgprLocalWriteAddrA], v[vgprG2LA+5] offset:5440 // lwoA_0_0_5_0 = (0*LSCA)*(MT0I+PAD) + (5*LSPA) = 5440
v_mfma_f32_16x16x4f32 v[0+0:3+0], v[vgprValuB_X2_I0+0+0+0], v[vgprValuA_X2_I0+0+0+0], v[0:3]
/*  mfmaIndex:25  */
_global_load_b32 v[vgprG2LA+5], v[vgprGlobalReadAddrA+10:vgprGlobalReadAddrA+10+1], off, offset:0 // G -> Reg 0_0_5_0
v_mfma_f32_16x16x4f32 v[4+0:7+0], v[vgprValuB_X2_I0+0+0+0], v[vgprValuA_X2_I0+1+0+0], v[4:7]
/*  mfmaIndex:26  */
/* sched write - iter 2 writesPerItem=1 */
s_waitcnt vmcnt(0)                                 // lgkmcnt=-1 vmcnt=0wait for global read before writing to local
_ds_store_b32 v[vgprLocalWriteAddrA], v[vgprG2LA+6] offset:6528 // lwoA_0_0_6_0 = (0*LSCA)*(MT0I+PAD) + (6*LSPA) = 6528
v_mfma_f32_16x16x4f32 v[12+0:15+0], v[vgprValuB_X2_I0+1+0+0], v[vgprValuA_X2_I0+1+0+0], v[12:15]
/*  mfmaIndex:27  */
_global_load_b32 v[vgprG2LA+6], v[vgprGlobalReadAddrA+12:vgprGlobalReadAddrA+12+1], off, offset:0 // G -> Reg 0_0_6_0
/* sched write - iter 2 writesPerItem=1 */
s_waitcnt vmcnt(0)                                 // lgkmcnt=-1 vmcnt=0wait for global read before writing to local
_ds_store_b32 v[vgprLocalWriteAddrA], v[vgprG2LA+7] offset:7616 // lwoA_0_0_7_0 = (0*LSCA)*(MT0I+PAD) + (7*LSPA) = 7616
v_mfma_f32_16x16x4f32 v[8+0:11+0], v[vgprValuB_X2_I0+1+0+0], v[vgprValuA_X2_I0+0+0+0], v[8:11]
/*  mfmaIndex:28  */
_global_load_b32 v[vgprG2LA+7], v[vgprGlobalReadAddrA+14:vgprGlobalReadAddrA+14+1], off, offset:0 // G -> Reg 0_0_7_0
v_mfma_f32_16x16x4f32 v[16+0:19+0], v[vgprValuB_X2_I0+2+0+0], v[vgprValuA_X2_I0+0+0+0], v[16:19]
/*  mfmaIndex:29  */
/* sched write - iter 2 writesPerItem=1 */
s_waitcnt vmcnt(0)                                 // lgkmcnt=-1 vmcnt=0wait for global read before writing to local
_ds_store_b32 v[vgprLocalWriteAddrB], v[vgprG2LB+0] offset:0 // lwoB_0_0_0_0 = (0*LSCB)*(MT1J+PAD) + (0*LSPB) = 0
v_mfma_f32_16x16x4f32 v[20+0:23+0], v[vgprValuB_X2_I0+2+0+0], v[vgprValuA_X2_I0+1+0+0], v[20:23]
/*  mfmaIndex:30  */
_global_load_b32 v[vgprG2LB+0], v[vgprGlobalReadAddrB+0:vgprGlobalReadAddrB+0+1], off, offset:0 // G -> Reg 0_0_0_0
v_mfma_f32_16x16x4f32 v[28+0:31+0], v[vgprValuB_X2_I0+3+0+0], v[vgprValuA_X2_I0+1+0+0], v[28:31]
/*  mfmaIndex:31  */
/* sched write - iter 2 writesPerItem=1 */
s_waitcnt vmcnt(0)                                 // lgkmcnt=-1 vmcnt=0wait for global read before writing to local
_ds_store_b32 v[vgprLocalWriteAddrB], v[vgprG2LB+1] offset:1088 // lwoB_0_0_1_0 = (0*LSCB)*(MT1J+PAD) + (1*LSPB) = 1088
v_mfma_f32_16x16x4f32 v[24+0:27+0], v[vgprValuB_X2_I0+3+0+0], v[vgprValuA_X2_I0+0+0+0], v[24:27]
/*  mfmaIndex:32  */
_global_load_b32 v[vgprG2LB+1], v[vgprGlobalReadAddrB+2:vgprGlobalReadAddrB+2+1], off, offset:0 // G -> Reg 0_0_1_0
v_mfma_f32_16x16x4f32 v[32+0:35+0], v[vgprValuB_X2_I0+4+0+0], v[vgprValuA_X2_I0+0+0+0], v[32:35]
/*  mfmaIndex:33  */
/* sched write - iter 2 writesPerItem=1 */
s_waitcnt vmcnt(0)                                 // lgkmcnt=-1 vmcnt=0wait for global read before writing to local
_ds_store_b32 v[vgprLocalWriteAddrB], v[vgprG2LB+2] offset:2176 // lwoB_0_0_2_0 = (0*LSCB)*(MT1J+PAD) + (2*LSPB) = 2176
v_mfma_f32_16x16x4f32 v[36+0:39+0], v[vgprValuB_X2_I0+4+0+0], v[vgprValuA_X2_I0+1+0+0], v[36:39]
/*  mfmaIndex:34  */
_global_load_b32 v[vgprG2LB+2], v[vgprGlobalReadAddrB+4:vgprGlobalReadAddrB+4+1], off, offset:0 // G -> Reg 0_0_2_0
v_mfma_f32_16x16x4f32 v[44+0:47+0], v[vgprValuB_X2_I0+5+0+0], v[vgprValuA_X2_I0+1+0+0], v[44:47]
/*  mfmaIndex:35  */
/* sched write - iter 2 writesPerItem=1 */
s_waitcnt vmcnt(0)                                 // lgkmcnt=-1 vmcnt=0wait for global read before writing to local
_ds_store_b32 v[vgprLocalWriteAddrB], v[vgprG2LB+3] offset:3264 // lwoB_0_0_3_0 = (0*LSCB)*(MT1J+PAD) + (3*LSPB) = 3264

/* local read swap offsets a */

/* local read swap offsets b */

/* local read init pointers a */

/* localReadInitPointers */

/* local read init pointers b */

/* localReadInitPointers */
v_mfma_f32_16x16x4f32 v[40+0:43+0], v[vgprValuB_X2_I0+5+0+0], v[vgprValuA_X2_I0+0+0+0], v[40:43]


/* iter 3 (swap and reset local write pointers iteration)  */

/*  grEndMfmaIndex:10, lwStartMfmaIndex:15, lwEndMfmaIndex:40  */
/*  numMfmaForLR:5, barrierMfmaIndex:42, LocalWritePerMfma:0.540 */
/*  mfmaIndex:36  */
_global_load_b32 v[vgprG2LB+3], v[vgprGlobalReadAddrB+6:vgprGlobalReadAddrB+6+1], off, offset:0 // G -> Reg 0_0_3_0
v_mfma_f32_16x16x4f32 v[0+0:3+0], v[vgprValuB_X3_I0+0+0+0], v[vgprValuA_X3_I0+0+0+0], v[0:3]
/*  mfmaIndex:37  */
/* sched write - iter 3 writesPerItem=1 */
s_waitcnt vmcnt(0)                                 // lgkmcnt=-1 vmcnt=0wait for global read before writing to local
_ds_store_b32 v[vgprLocalWriteAddrB], v[vgprG2LB+4] offset:4352 // lwoB_0_0_4_0 = (0*LSCB)*(MT1J+PAD) + (4*LSPB) = 4352
v_mfma_f32_16x16x4f32 v[4+0:7+0], v[vgprValuB_X3_I0+0+0+0], v[vgprValuA_X3_I0+1+0+0], v[4:7]
/*  mfmaIndex:38  */
_global_load_b32 v[vgprG2LB+4], v[vgprGlobalReadAddrB+8:vgprGlobalReadAddrB+8+1], off, offset:0 // G -> Reg 0_0_4_0
v_mfma_f32_16x16x4f32 v[12+0:15+0], v[vgprValuB_X3_I0+1+0+0], v[vgprValuA_X3_I0+1+0+0], v[12:15]
/*  mfmaIndex:39  */
/* sched write - iter 3 writesPerItem=1 */
s_waitcnt vmcnt(0)                                 // lgkmcnt=-1 vmcnt=0wait for global read before writing to local
_ds_store_b32 v[vgprLocalWriteAddrB], v[vgprG2LB+5] offset:5440 // lwoB_0_0_5_0 = (0*LSCB)*(MT1J+PAD) + (5*LSPB) = 5440
v_mfma_f32_16x16x4f32 v[8+0:11+0], v[vgprValuB_X3_I0+1+0+0], v[vgprValuA_X3_I0+0+0+0], v[8:11]
/*  mfmaIndex:40  */
_global_load_b32 v[vgprG2LB+5], v[vgprGlobalReadAddrB+10:vgprGlobalReadAddrB+10+1], off, offset:0 // G -> Reg 0_0_5_0

/* local write swap offsets a */

/* local write swap offsets b */
v_mfma_f32_16x16x4f32 v[16+0:19+0], v[vgprValuB_X3_I0+2+0+0], v[vgprValuA_X3_I0+0+0+0], v[16:19]
/*  mfmaIndex:41  */
v_mfma_f32_16x16x4f32 v[20+0:23+0], v[vgprValuB_X3_I0+2+0+0], v[vgprValuA_X3_I0+1+0+0], v[20:23]
/*  mfmaIndex:42  */
s_waitcnt lgkmcnt(0)                               // lgkmcnt=0 vmcnt=-13wait for local write
// Skip force waitcnt0
s_barrier //
v_mfma_f32_16x16x4f32 v[28+0:31+0], v[vgprValuB_X3_I0+3+0+0], v[vgprValuA_X3_I0+1+0+0], v[28:31]
/*  mfmaIndex:43  */
_ds_load_b32 v[vgprValuA_X0_I0+0], v[vgprLocalReadAddrA] offset:0 // L -> Reg lro=0 swapByteOffset=0 ti=64 vIdx=0 rIdx=0 oIdx=0 buffer=0 iui=0
_ds_load_b32 v[vgprValuB_X0_I0+0], v[vgprLocalReadAddrB] offset:0 // L -> Reg lro=0 swapByteOffset=0 ti=16 vIdx=0 rIdx=0 oIdx=0 buffer=0 iui=0
v_mfma_f32_16x16x4f32 v[24+0:27+0], v[vgprValuB_X3_I0+3+0+0], v[vgprValuA_X3_I0+0+0+0], v[24:27]
/*  mfmaIndex:44  */
_ds_load_b32 v[vgprValuA_X0_I0+1], v[vgprLocalReadAddrA] offset:4352 // L -> Reg lro=0 swapByteOffset=0 ti=64 vIdx=1 rIdx=0 oIdx=0 buffer=0 iui=0
_ds_load_b32 v[vgprValuB_X0_I0+1], v[vgprLocalReadAddrB] offset:1088 // L -> Reg lro=0 swapByteOffset=0 ti=16 vIdx=1 rIdx=0 oIdx=0 buffer=0 iui=0
v_mfma_f32_16x16x4f32 v[32+0:35+0], v[vgprValuB_X3_I0+4+0+0], v[vgprValuA_X3_I0+0+0+0], v[32:35]
/*  mfmaIndex:45  */
_ds_load_b32 v[vgprValuB_X0_I0+2], v[vgprLocalReadAddrB] offset:2176 // L -> Reg lro=0 swapByteOffset=0 ti=16 vIdx=2 rIdx=0 oIdx=0 buffer=0 iui=0
_ds_load_b32 v[vgprValuB_X0_I0+3], v[vgprLocalReadAddrB] offset:3264 // L -> Reg lro=0 swapByteOffset=0 ti=16 vIdx=3 rIdx=0 oIdx=0 buffer=0 iui=0
v_mfma_f32_16x16x4f32 v[36+0:39+0], v[vgprValuB_X3_I0+4+0+0], v[vgprValuA_X3_I0+1+0+0], v[36:39]
/*  mfmaIndex:46  */
_ds_load_b32 v[vgprValuB_X0_I0+4], v[vgprLocalReadAddrB] offset:4352 // L -> Reg lro=0 swapByteOffset=0 ti=16 vIdx=4 rIdx=0 oIdx=0 buffer=0 iui=0
_ds_load_b32 v[vgprValuB_X0_I0+5], v[vgprLocalReadAddrB] offset:5440 // L -> Reg lro=0 swapByteOffset=0 ti=16 vIdx=5 rIdx=0 oIdx=0 buffer=0 iui=0
v_mfma_f32_16x16x4f32 v[44+0:47+0], v[vgprValuB_X3_I0+5+0+0], v[vgprValuA_X3_I0+1+0+0], v[44:47]
/*  mfmaIndex:47  */
v_mfma_f32_16x16x4f32 v[40+0:43+0], v[vgprValuB_X3_I0+5+0+0], v[vgprValuA_X3_I0+0+0+0], v[40:43]


/******************************************/
/* Unrolled Loop - End                    */
/******************************************/


/* closeLoop loopL finalLoop=1 tailLoop=0 */
s_sub_u32 s[sgprLoopCounterL], s[sgprLoopCounterL], 1 // dec counterL
s_cmp_eq_i32 s[sgprLoopCounterL], 0x2              // counterL==2
s_cbranch_scc0 LoopBeginL_1                        // restart LoopL
LoopEndL_2:


/* Before NLL: Check VGPR.checkin for INT8 LW */


/******************************************/
/* Ord. NoGlobalLoadLoop - Begin                                      */
/******************************************/


	;; [unrolled: 1-line block ×3, first 2 shown]
/* iter 0 */

/*  grEndMfmaIndex:10, lwStartMfmaIndex:15, lwEndMfmaIndex:40  */
/*  numMfmaForLR:5, barrierMfmaIndex:42, LocalWritePerMfma:0.540 */
/*  mfmaIndex:0  */
s_waitcnt lgkmcnt(0)                               // lgkmcnt=0 vmcnt=-1wait for prior local read local write old=0, new=0 newLW=0 newLR=0
v_mfma_f32_16x16x4f32 v[0+0:3+0], v[vgprValuB_X0_I0+0+0+0], v[vgprValuA_X0_I0+0+0+0], v[0:3]
/*  mfmaIndex:1  */
_ds_load_b32 v[vgprValuA_X1_I0+0], v[vgprLocalReadAddrA] offset:16 // L -> Reg lro=4 swapByteOffset=0 ti=64 vIdx=0 rIdx=0 oIdx=0 buffer=1 iui=0
_ds_load_b32 v[vgprValuB_X1_I0+0], v[vgprLocalReadAddrB] offset:16 // L -> Reg lro=4 swapByteOffset=0 ti=16 vIdx=0 rIdx=0 oIdx=0 buffer=1 iui=0

/* global read inc A loopL */
_v_add_co_u32  v[vgprGlobalReadAddrA+0+0], vcc, v[vgprGlobalReadAddrA+0+0], v[vgprGlobalReadIncsA+0+0] // gra += incAL (lower)
_v_addc_co_u32 v[vgprGlobalReadAddrA+0+1], vcc, v[vgprGlobalReadAddrA+0+1], v[vgprGlobalReadIncsA+0+1], vcc // gra += incAL (upper)
_v_add_co_u32  v[vgprGlobalReadAddrA+2+0], vcc, v[vgprGlobalReadAddrA+2+0], v[vgprGlobalReadIncsA+0+0] // gra += incAL (lower)
v_mfma_f32_16x16x4f32 v[4+0:7+0], v[vgprValuB_X0_I0+0+0+0], v[vgprValuA_X0_I0+1+0+0], v[4:7]
/*  mfmaIndex:2  */
_ds_load_b32 v[vgprValuA_X1_I0+1], v[vgprLocalReadAddrA] offset:4368 // L -> Reg lro=4 swapByteOffset=0 ti=64 vIdx=1 rIdx=0 oIdx=0 buffer=1 iui=0
_ds_load_b32 v[vgprValuB_X1_I0+1], v[vgprLocalReadAddrB] offset:1104 // L -> Reg lro=4 swapByteOffset=0 ti=16 vIdx=1 rIdx=0 oIdx=0 buffer=1 iui=0
_v_addc_co_u32 v[vgprGlobalReadAddrA+2+1], vcc, v[vgprGlobalReadAddrA+2+1], v[vgprGlobalReadIncsA+0+1], vcc // gra += incAL (upper)
_v_add_co_u32  v[vgprGlobalReadAddrA+4+0], vcc, v[vgprGlobalReadAddrA+4+0], v[vgprGlobalReadIncsA+0+0] // gra += incAL (lower)
_v_addc_co_u32 v[vgprGlobalReadAddrA+4+1], vcc, v[vgprGlobalReadAddrA+4+1], v[vgprGlobalReadIncsA+0+1], vcc // gra += incAL (upper)
v_mfma_f32_16x16x4f32 v[12+0:15+0], v[vgprValuB_X0_I0+1+0+0], v[vgprValuA_X0_I0+1+0+0], v[12:15]
/*  mfmaIndex:3  */
_ds_load_b32 v[vgprValuB_X1_I0+2], v[vgprLocalReadAddrB] offset:2192 // L -> Reg lro=4 swapByteOffset=0 ti=16 vIdx=2 rIdx=0 oIdx=0 buffer=1 iui=0
_ds_load_b32 v[vgprValuB_X1_I0+3], v[vgprLocalReadAddrB] offset:3280 // L -> Reg lro=4 swapByteOffset=0 ti=16 vIdx=3 rIdx=0 oIdx=0 buffer=1 iui=0
_v_add_co_u32  v[vgprGlobalReadAddrA+6+0], vcc, v[vgprGlobalReadAddrA+6+0], v[vgprGlobalReadIncsA+0+0] // gra += incAL (lower)
_v_addc_co_u32 v[vgprGlobalReadAddrA+6+1], vcc, v[vgprGlobalReadAddrA+6+1], v[vgprGlobalReadIncsA+0+1], vcc // gra += incAL (upper)
_v_add_co_u32  v[vgprGlobalReadAddrA+8+0], vcc, v[vgprGlobalReadAddrA+8+0], v[vgprGlobalReadIncsA+0+0] // gra += incAL (lower)
v_mfma_f32_16x16x4f32 v[8+0:11+0], v[vgprValuB_X0_I0+1+0+0], v[vgprValuA_X0_I0+0+0+0], v[8:11]
/*  mfmaIndex:4  */
_ds_load_b32 v[vgprValuB_X1_I0+4], v[vgprLocalReadAddrB] offset:4368 // L -> Reg lro=4 swapByteOffset=0 ti=16 vIdx=4 rIdx=0 oIdx=0 buffer=1 iui=0
_ds_load_b32 v[vgprValuB_X1_I0+5], v[vgprLocalReadAddrB] offset:5456 // L -> Reg lro=4 swapByteOffset=0 ti=16 vIdx=5 rIdx=0 oIdx=0 buffer=1 iui=0
/* localReadsVacancy: latencyLeft 1 */
_v_addc_co_u32 v[vgprGlobalReadAddrA+8+1], vcc, v[vgprGlobalReadAddrA+8+1], v[vgprGlobalReadIncsA+0+1], vcc // gra += incAL (upper)
_v_add_co_u32  v[vgprGlobalReadAddrA+10+0], vcc, v[vgprGlobalReadAddrA+10+0], v[vgprGlobalReadIncsA+0+0] // gra += incAL (lower)
_v_addc_co_u32 v[vgprGlobalReadAddrA+10+1], vcc, v[vgprGlobalReadAddrA+10+1], v[vgprGlobalReadIncsA+0+1], vcc // gra += incAL (upper)
v_mfma_f32_16x16x4f32 v[16+0:19+0], v[vgprValuB_X0_I0+2+0+0], v[vgprValuA_X0_I0+0+0+0], v[16:19]
/*  mfmaIndex:5  */
/* localReadsVacancy: latencyLeft 5 */
_ds_load_b32 v[vgprValuA_X2_I0+0], v[vgprLocalReadAddrA] offset:32 // L -> Reg lro=8 swapByteOffset=0 ti=64 vIdx=0 rIdx=0 oIdx=0 buffer=2 iui=0
_ds_load_b32 v[vgprValuB_X2_I0+0], v[vgprLocalReadAddrB] offset:32 // L -> Reg lro=8 swapByteOffset=0 ti=16 vIdx=0 rIdx=0 oIdx=0 buffer=2 iui=0
_v_add_co_u32  v[vgprGlobalReadAddrA+12+0], vcc, v[vgprGlobalReadAddrA+12+0], v[vgprGlobalReadIncsA+0+0] // gra += incAL (lower)
_v_addc_co_u32 v[vgprGlobalReadAddrA+12+1], vcc, v[vgprGlobalReadAddrA+12+1], v[vgprGlobalReadIncsA+0+1], vcc // gra += incAL (upper)
_v_add_co_u32  v[vgprGlobalReadAddrA+14+0], vcc, v[vgprGlobalReadAddrA+14+0], v[vgprGlobalReadIncsA+0+0] // gra += incAL (lower)
v_mfma_f32_16x16x4f32 v[20+0:23+0], v[vgprValuB_X0_I0+2+0+0], v[vgprValuA_X0_I0+1+0+0], v[20:23]
/*  mfmaIndex:6  */
/* localReadsVacancy: latencyLeft 5 */
_ds_load_b32 v[vgprValuA_X2_I0+1], v[vgprLocalReadAddrA] offset:4384 // L -> Reg lro=8 swapByteOffset=0 ti=64 vIdx=1 rIdx=0 oIdx=0 buffer=2 iui=0
_ds_load_b32 v[vgprValuB_X2_I0+1], v[vgprLocalReadAddrB] offset:1120 // L -> Reg lro=8 swapByteOffset=0 ti=16 vIdx=1 rIdx=0 oIdx=0 buffer=2 iui=0
_v_addc_co_u32 v[vgprGlobalReadAddrA+14+1], vcc, v[vgprGlobalReadAddrA+14+1], v[vgprGlobalReadIncsA+0+1], vcc // gra += incAL (upper)

/* global read inc B loopL */
_v_add_co_u32  v[vgprGlobalReadAddrB+0+0], vcc, v[vgprGlobalReadAddrB+0+0], v[vgprGlobalReadIncsB+0+0] // gra += incBL (lower)
_v_addc_co_u32 v[vgprGlobalReadAddrB+0+1], vcc, v[vgprGlobalReadAddrB+0+1], v[vgprGlobalReadIncsB+0+1], vcc // gra += incBL (upper)
v_mfma_f32_16x16x4f32 v[28+0:31+0], v[vgprValuB_X0_I0+3+0+0], v[vgprValuA_X0_I0+1+0+0], v[28:31]
/*  mfmaIndex:7  */
/* localReadsVacancy: latencyLeft 5 */
_ds_load_b32 v[vgprValuB_X2_I0+2], v[vgprLocalReadAddrB] offset:2208 // L -> Reg lro=8 swapByteOffset=0 ti=16 vIdx=2 rIdx=0 oIdx=0 buffer=2 iui=0
_ds_load_b32 v[vgprValuB_X2_I0+3], v[vgprLocalReadAddrB] offset:3296 // L -> Reg lro=8 swapByteOffset=0 ti=16 vIdx=3 rIdx=0 oIdx=0 buffer=2 iui=0
_v_add_co_u32  v[vgprGlobalReadAddrB+2+0], vcc, v[vgprGlobalReadAddrB+2+0], v[vgprGlobalReadIncsB+0+0] // gra += incBL (lower)
_v_addc_co_u32 v[vgprGlobalReadAddrB+2+1], vcc, v[vgprGlobalReadAddrB+2+1], v[vgprGlobalReadIncsB+0+1], vcc // gra += incBL (upper)
_v_add_co_u32  v[vgprGlobalReadAddrB+4+0], vcc, v[vgprGlobalReadAddrB+4+0], v[vgprGlobalReadIncsB+0+0] // gra += incBL (lower)
v_mfma_f32_16x16x4f32 v[24+0:27+0], v[vgprValuB_X0_I0+3+0+0], v[vgprValuA_X0_I0+0+0+0], v[24:27]
/*  mfmaIndex:8  */
/* localReadsVacancy: latencyLeft 5 */
_ds_load_b32 v[vgprValuB_X2_I0+4], v[vgprLocalReadAddrB] offset:4384 // L -> Reg lro=8 swapByteOffset=0 ti=16 vIdx=4 rIdx=0 oIdx=0 buffer=2 iui=0
_ds_load_b32 v[vgprValuB_X2_I0+5], v[vgprLocalReadAddrB] offset:5472 // L -> Reg lro=8 swapByteOffset=0 ti=16 vIdx=5 rIdx=0 oIdx=0 buffer=2 iui=0
_v_addc_co_u32 v[vgprGlobalReadAddrB+4+1], vcc, v[vgprGlobalReadAddrB+4+1], v[vgprGlobalReadIncsB+0+1], vcc // gra += incBL (upper)
_v_add_co_u32  v[vgprGlobalReadAddrB+6+0], vcc, v[vgprGlobalReadAddrB+6+0], v[vgprGlobalReadIncsB+0+0] // gra += incBL (lower)
_v_addc_co_u32 v[vgprGlobalReadAddrB+6+1], vcc, v[vgprGlobalReadAddrB+6+1], v[vgprGlobalReadIncsB+0+1], vcc // gra += incBL (upper)
v_mfma_f32_16x16x4f32 v[32+0:35+0], v[vgprValuB_X0_I0+4+0+0], v[vgprValuA_X0_I0+0+0+0], v[32:35]
/*  mfmaIndex:9  */
/* localReadsVacancy: latencyLeft 5 */
_ds_load_b32 v[vgprValuA_X3_I0+0], v[vgprLocalReadAddrA] offset:48 // L -> Reg lro=12 swapByteOffset=0 ti=64 vIdx=0 rIdx=0 oIdx=0 buffer=3 iui=0
_ds_load_b32 v[vgprValuB_X3_I0+0], v[vgprLocalReadAddrB] offset:48 // L -> Reg lro=12 swapByteOffset=0 ti=16 vIdx=0 rIdx=0 oIdx=0 buffer=3 iui=0
_v_add_co_u32  v[vgprGlobalReadAddrB+8+0], vcc, v[vgprGlobalReadAddrB+8+0], v[vgprGlobalReadIncsB+0+0] // gra += incBL (lower)
_v_addc_co_u32 v[vgprGlobalReadAddrB+8+1], vcc, v[vgprGlobalReadAddrB+8+1], v[vgprGlobalReadIncsB+0+1], vcc // gra += incBL (upper)
_v_add_co_u32  v[vgprGlobalReadAddrB+10+0], vcc, v[vgprGlobalReadAddrB+10+0], v[vgprGlobalReadIncsB+0+0] // gra += incBL (lower)
v_mfma_f32_16x16x4f32 v[36+0:39+0], v[vgprValuB_X0_I0+4+0+0], v[vgprValuA_X0_I0+1+0+0], v[36:39]
/*  mfmaIndex:10  */
/* localReadsVacancy: latencyLeft 5 */
_ds_load_b32 v[vgprValuA_X3_I0+1], v[vgprLocalReadAddrA] offset:4400 // L -> Reg lro=12 swapByteOffset=0 ti=64 vIdx=1 rIdx=0 oIdx=0 buffer=3 iui=0
_ds_load_b32 v[vgprValuB_X3_I0+1], v[vgprLocalReadAddrB] offset:1136 // L -> Reg lro=12 swapByteOffset=0 ti=16 vIdx=1 rIdx=0 oIdx=0 buffer=3 iui=0
_v_addc_co_u32 v[vgprGlobalReadAddrB+10+1], vcc, v[vgprGlobalReadAddrB+10+1], v[vgprGlobalReadIncsB+0+1], vcc // gra += incBL (upper)
v_mfma_f32_16x16x4f32 v[44+0:47+0], v[vgprValuB_X0_I0+5+0+0], v[vgprValuA_X0_I0+1+0+0], v[44:47]
/*  mfmaIndex:11  */
/* localReadsVacancy: latencyLeft 5 */
_ds_load_b32 v[vgprValuB_X3_I0+2], v[vgprLocalReadAddrB] offset:2224 // L -> Reg lro=12 swapByteOffset=0 ti=16 vIdx=2 rIdx=0 oIdx=0 buffer=3 iui=0
_ds_load_b32 v[vgprValuB_X3_I0+3], v[vgprLocalReadAddrB] offset:3312 // L -> Reg lro=12 swapByteOffset=0 ti=16 vIdx=3 rIdx=0 oIdx=0 buffer=3 iui=0
v_mfma_f32_16x16x4f32 v[40+0:43+0], v[vgprValuB_X0_I0+5+0+0], v[vgprValuA_X0_I0+0+0+0], v[40:43]
/* numPrefetchIter=0 */
/* dataAtIterA=-1 numReadsIterA=1 skipReadsIterA=1 readsPerIterA=2 */
/* dataAtIterB=-1 numReadsIterB=1 skipReadsIterB=1 readsPerIterB=6 */


/* iter 1 */

/*  grEndMfmaIndex:10, lwStartMfmaIndex:15, lwEndMfmaIndex:40  */
/*  numMfmaForLR:5, barrierMfmaIndex:42, LocalWritePerMfma:0.540 */
/*  mfmaIndex:12  */
/* localReadsVacancy: latencyLeft 5 */
_ds_load_b32 v[vgprValuB_X3_I0+4], v[vgprLocalReadAddrB] offset:4400 // L -> Reg lro=12 swapByteOffset=0 ti=16 vIdx=4 rIdx=0 oIdx=0 buffer=3 iui=0
_ds_load_b32 v[vgprValuB_X3_I0+5], v[vgprLocalReadAddrB] offset:5488 // L -> Reg lro=12 swapByteOffset=0 ti=16 vIdx=5 rIdx=0 oIdx=0 buffer=3 iui=0
s_waitcnt lgkmcnt(15)                              // lgkmcnt=0 vmcnt=-1wait for prior local read local write old=8, new=8 newLW=0 newLR=0
v_mfma_f32_16x16x4f32 v[0+0:3+0], v[vgprValuB_X1_I0+0+0+0], v[vgprValuA_X1_I0+0+0+0], v[0:3]
/*  mfmaIndex:13  */
/* localReadsVacancy: latencyLeft 5 */
v_mfma_f32_16x16x4f32 v[4+0:7+0], v[vgprValuB_X1_I0+0+0+0], v[vgprValuA_X1_I0+1+0+0], v[4:7]
/*  mfmaIndex:14  */
/* localReadsVacancy: latencyLeft 5 */
/* 1 LDS buffer: read-sync-write */
s_waitcnt lgkmcnt(0)                               // 
s_barrier                                          // 
v_mfma_f32_16x16x4f32 v[12+0:15+0], v[vgprValuB_X1_I0+1+0+0], v[vgprValuA_X1_I0+1+0+0], v[12:15]
/*  mfmaIndex:15  */
/* localReadsVacancy: latencyLeft 1 */
/* sched write - iter 1 writesPerItem=1 */
s_waitcnt vmcnt(0)                                 // lgkmcnt=-1 vmcnt=0wait for global read before writing to local
_ds_store_b32 v[vgprLocalWriteAddrA], v[vgprG2LA+0] offset:0 // lwoA_0_0_0_0 = (0*LSCA)*(MT0I+PAD) + (0*LSPA) = 0
v_mfma_f32_16x16x4f32 v[8+0:11+0], v[vgprValuB_X1_I0+1+0+0], v[vgprValuA_X1_I0+0+0+0], v[8:11]
/*  mfmaIndex:16  */
/* sched write - iter 1 writesPerItem=1 */
s_waitcnt vmcnt(0)                                 // lgkmcnt=-1 vmcnt=0wait for global read before writing to local
_ds_store_b32 v[vgprLocalWriteAddrA], v[vgprG2LA+1] offset:1088 // lwoA_0_0_1_0 = (0*LSCA)*(MT0I+PAD) + (1*LSPA) = 1088
v_mfma_f32_16x16x4f32 v[16+0:19+0], v[vgprValuB_X1_I0+2+0+0], v[vgprValuA_X1_I0+0+0+0], v[16:19]
/*  mfmaIndex:17  */
v_mfma_f32_16x16x4f32 v[20+0:23+0], v[vgprValuB_X1_I0+2+0+0], v[vgprValuA_X1_I0+1+0+0], v[20:23]
/*  mfmaIndex:18  */
/* sched write - iter 1 writesPerItem=1 */
s_waitcnt vmcnt(0)                                 // lgkmcnt=-1 vmcnt=0wait for global read before writing to local
_ds_store_b32 v[vgprLocalWriteAddrA], v[vgprG2LA+2] offset:2176 // lwoA_0_0_2_0 = (0*LSCA)*(MT0I+PAD) + (2*LSPA) = 2176
v_mfma_f32_16x16x4f32 v[28+0:31+0], v[vgprValuB_X1_I0+3+0+0], v[vgprValuA_X1_I0+1+0+0], v[28:31]
/*  mfmaIndex:19  */
v_mfma_f32_16x16x4f32 v[24+0:27+0], v[vgprValuB_X1_I0+3+0+0], v[vgprValuA_X1_I0+0+0+0], v[24:27]
/*  mfmaIndex:20  */
/* sched write - iter 1 writesPerItem=1 */
s_waitcnt vmcnt(0)                                 // lgkmcnt=-1 vmcnt=0wait for global read before writing to local
_ds_store_b32 v[vgprLocalWriteAddrA], v[vgprG2LA+3] offset:3264 // lwoA_0_0_3_0 = (0*LSCA)*(MT0I+PAD) + (3*LSPA) = 3264
v_mfma_f32_16x16x4f32 v[32+0:35+0], v[vgprValuB_X1_I0+4+0+0], v[vgprValuA_X1_I0+0+0+0], v[32:35]
/*  mfmaIndex:21  */
v_mfma_f32_16x16x4f32 v[36+0:39+0], v[vgprValuB_X1_I0+4+0+0], v[vgprValuA_X1_I0+1+0+0], v[36:39]
/*  mfmaIndex:22  */
/* sched write - iter 1 writesPerItem=1 */
s_waitcnt vmcnt(0)                                 // lgkmcnt=-1 vmcnt=0wait for global read before writing to local
_ds_store_b32 v[vgprLocalWriteAddrA], v[vgprG2LA+4] offset:4352 // lwoA_0_0_4_0 = (0*LSCA)*(MT0I+PAD) + (4*LSPA) = 4352
v_mfma_f32_16x16x4f32 v[44+0:47+0], v[vgprValuB_X1_I0+5+0+0], v[vgprValuA_X1_I0+1+0+0], v[44:47]
/*  mfmaIndex:23  */
v_mfma_f32_16x16x4f32 v[40+0:43+0], v[vgprValuB_X1_I0+5+0+0], v[vgprValuA_X1_I0+0+0+0], v[40:43]
/* numPrefetchIter=0 */
/* dataAtIterA=0 numReadsIterA=2 skipReadsIterA=1 readsPerIterA=2 */
/* dataAtIterB=0 numReadsIterB=2 skipReadsIterB=1 readsPerIterB=6 */


/* iter 2 (reset local read pointers iteration)  (swap local read pointers iteration)  */

/*  grEndMfmaIndex:10, lwStartMfmaIndex:15, lwEndMfmaIndex:40  */
/*  numMfmaForLR:5, barrierMfmaIndex:42, LocalWritePerMfma:0.540 */
/*  mfmaIndex:24  */
/* sched write - iter 2 writesPerItem=1 */
s_waitcnt vmcnt(0)                                 // lgkmcnt=-1 vmcnt=0wait for global read before writing to local
_ds_store_b32 v[vgprLocalWriteAddrA], v[vgprG2LA+5] offset:5440 // lwoA_0_0_5_0 = (0*LSCA)*(MT0I+PAD) + (5*LSPA) = 5440
v_mfma_f32_16x16x4f32 v[0+0:3+0], v[vgprValuB_X2_I0+0+0+0], v[vgprValuA_X2_I0+0+0+0], v[0:3]
/*  mfmaIndex:25  */
v_mfma_f32_16x16x4f32 v[4+0:7+0], v[vgprValuB_X2_I0+0+0+0], v[vgprValuA_X2_I0+1+0+0], v[4:7]
/*  mfmaIndex:26  */
/* sched write - iter 2 writesPerItem=1 */
s_waitcnt vmcnt(0)                                 // lgkmcnt=-1 vmcnt=0wait for global read before writing to local
_ds_store_b32 v[vgprLocalWriteAddrA], v[vgprG2LA+6] offset:6528 // lwoA_0_0_6_0 = (0*LSCA)*(MT0I+PAD) + (6*LSPA) = 6528
v_mfma_f32_16x16x4f32 v[12+0:15+0], v[vgprValuB_X2_I0+1+0+0], v[vgprValuA_X2_I0+1+0+0], v[12:15]
/*  mfmaIndex:27  */
/* sched write - iter 2 writesPerItem=1 */
s_waitcnt vmcnt(0)                                 // lgkmcnt=-1 vmcnt=0wait for global read before writing to local
_ds_store_b32 v[vgprLocalWriteAddrA], v[vgprG2LA+7] offset:7616 // lwoA_0_0_7_0 = (0*LSCA)*(MT0I+PAD) + (7*LSPA) = 7616
v_mfma_f32_16x16x4f32 v[8+0:11+0], v[vgprValuB_X2_I0+1+0+0], v[vgprValuA_X2_I0+0+0+0], v[8:11]
/*  mfmaIndex:28  */
v_mfma_f32_16x16x4f32 v[16+0:19+0], v[vgprValuB_X2_I0+2+0+0], v[vgprValuA_X2_I0+0+0+0], v[16:19]
/*  mfmaIndex:29  */
/* sched write - iter 2 writesPerItem=1 */
s_waitcnt vmcnt(0)                                 // lgkmcnt=-1 vmcnt=0wait for global read before writing to local
_ds_store_b32 v[vgprLocalWriteAddrB], v[vgprG2LB+0] offset:0 // lwoB_0_0_0_0 = (0*LSCB)*(MT1J+PAD) + (0*LSPB) = 0
v_mfma_f32_16x16x4f32 v[20+0:23+0], v[vgprValuB_X2_I0+2+0+0], v[vgprValuA_X2_I0+1+0+0], v[20:23]
/*  mfmaIndex:30  */
v_mfma_f32_16x16x4f32 v[28+0:31+0], v[vgprValuB_X2_I0+3+0+0], v[vgprValuA_X2_I0+1+0+0], v[28:31]
/*  mfmaIndex:31  */
/* sched write - iter 2 writesPerItem=1 */
s_waitcnt vmcnt(0)                                 // lgkmcnt=-1 vmcnt=0wait for global read before writing to local
_ds_store_b32 v[vgprLocalWriteAddrB], v[vgprG2LB+1] offset:1088 // lwoB_0_0_1_0 = (0*LSCB)*(MT1J+PAD) + (1*LSPB) = 1088
v_mfma_f32_16x16x4f32 v[24+0:27+0], v[vgprValuB_X2_I0+3+0+0], v[vgprValuA_X2_I0+0+0+0], v[24:27]
/*  mfmaIndex:32  */
v_mfma_f32_16x16x4f32 v[32+0:35+0], v[vgprValuB_X2_I0+4+0+0], v[vgprValuA_X2_I0+0+0+0], v[32:35]
/*  mfmaIndex:33  */
/* sched write - iter 2 writesPerItem=1 */
s_waitcnt vmcnt(0)                                 // lgkmcnt=-1 vmcnt=0wait for global read before writing to local
_ds_store_b32 v[vgprLocalWriteAddrB], v[vgprG2LB+2] offset:2176 // lwoB_0_0_2_0 = (0*LSCB)*(MT1J+PAD) + (2*LSPB) = 2176
v_mfma_f32_16x16x4f32 v[36+0:39+0], v[vgprValuB_X2_I0+4+0+0], v[vgprValuA_X2_I0+1+0+0], v[36:39]
/*  mfmaIndex:34  */
v_mfma_f32_16x16x4f32 v[44+0:47+0], v[vgprValuB_X2_I0+5+0+0], v[vgprValuA_X2_I0+1+0+0], v[44:47]
/*  mfmaIndex:35  */
/* sched write - iter 2 writesPerItem=1 */
s_waitcnt vmcnt(0)                                 // lgkmcnt=-1 vmcnt=0wait for global read before writing to local
_ds_store_b32 v[vgprLocalWriteAddrB], v[vgprG2LB+3] offset:3264 // lwoB_0_0_3_0 = (0*LSCB)*(MT1J+PAD) + (3*LSPB) = 3264

/* local read swap offsets a */

/* local read swap offsets b */

/* local read init pointers a */

/* localReadInitPointers */

/* local read init pointers b */

/* localReadInitPointers */
v_mfma_f32_16x16x4f32 v[40+0:43+0], v[vgprValuB_X2_I0+5+0+0], v[vgprValuA_X2_I0+0+0+0], v[40:43]


/* iter 3 (swap and reset local write pointers iteration)  */

/*  grEndMfmaIndex:10, lwStartMfmaIndex:15, lwEndMfmaIndex:40  */
/*  numMfmaForLR:5, barrierMfmaIndex:42, LocalWritePerMfma:0.540 */
/*  mfmaIndex:36  */
v_mfma_f32_16x16x4f32 v[0+0:3+0], v[vgprValuB_X3_I0+0+0+0], v[vgprValuA_X3_I0+0+0+0], v[0:3]
/*  mfmaIndex:37  */
/* sched write - iter 3 writesPerItem=1 */
s_waitcnt vmcnt(0)                                 // lgkmcnt=-1 vmcnt=0wait for global read before writing to local
_ds_store_b32 v[vgprLocalWriteAddrB], v[vgprG2LB+4] offset:4352 // lwoB_0_0_4_0 = (0*LSCB)*(MT1J+PAD) + (4*LSPB) = 4352
v_mfma_f32_16x16x4f32 v[4+0:7+0], v[vgprValuB_X3_I0+0+0+0], v[vgprValuA_X3_I0+1+0+0], v[4:7]
/*  mfmaIndex:38  */
v_mfma_f32_16x16x4f32 v[12+0:15+0], v[vgprValuB_X3_I0+1+0+0], v[vgprValuA_X3_I0+1+0+0], v[12:15]
/*  mfmaIndex:39  */
/* sched write - iter 3 writesPerItem=1 */
s_waitcnt vmcnt(0)                                 // lgkmcnt=-1 vmcnt=0wait for global read before writing to local
_ds_store_b32 v[vgprLocalWriteAddrB], v[vgprG2LB+5] offset:5440 // lwoB_0_0_5_0 = (0*LSCB)*(MT1J+PAD) + (5*LSPB) = 5440
v_mfma_f32_16x16x4f32 v[8+0:11+0], v[vgprValuB_X3_I0+1+0+0], v[vgprValuA_X3_I0+0+0+0], v[8:11]
/*  mfmaIndex:40  */

/* local write swap offsets a */

/* local write swap offsets b */
v_mfma_f32_16x16x4f32 v[16+0:19+0], v[vgprValuB_X3_I0+2+0+0], v[vgprValuA_X3_I0+0+0+0], v[16:19]
/*  mfmaIndex:41  */
v_mfma_f32_16x16x4f32 v[20+0:23+0], v[vgprValuB_X3_I0+2+0+0], v[vgprValuA_X3_I0+1+0+0], v[20:23]
/*  mfmaIndex:42  */
s_waitcnt lgkmcnt(0)                               // lgkmcnt=0 vmcnt=-13wait for local write
// Skip force waitcnt0
s_barrier //
v_mfma_f32_16x16x4f32 v[28+0:31+0], v[vgprValuB_X3_I0+3+0+0], v[vgprValuA_X3_I0+1+0+0], v[28:31]
/*  mfmaIndex:43  */
_ds_load_b32 v[vgprValuA_X0_I0+0], v[vgprLocalReadAddrA] offset:0 // L -> Reg lro=0 swapByteOffset=0 ti=64 vIdx=0 rIdx=0 oIdx=0 buffer=0 iui=0
_ds_load_b32 v[vgprValuB_X0_I0+0], v[vgprLocalReadAddrB] offset:0 // L -> Reg lro=0 swapByteOffset=0 ti=16 vIdx=0 rIdx=0 oIdx=0 buffer=0 iui=0
v_mfma_f32_16x16x4f32 v[24+0:27+0], v[vgprValuB_X3_I0+3+0+0], v[vgprValuA_X3_I0+0+0+0], v[24:27]
/*  mfmaIndex:44  */
_ds_load_b32 v[vgprValuA_X0_I0+1], v[vgprLocalReadAddrA] offset:4352 // L -> Reg lro=0 swapByteOffset=0 ti=64 vIdx=1 rIdx=0 oIdx=0 buffer=0 iui=0
_ds_load_b32 v[vgprValuB_X0_I0+1], v[vgprLocalReadAddrB] offset:1088 // L -> Reg lro=0 swapByteOffset=0 ti=16 vIdx=1 rIdx=0 oIdx=0 buffer=0 iui=0
v_mfma_f32_16x16x4f32 v[32+0:35+0], v[vgprValuB_X3_I0+4+0+0], v[vgprValuA_X3_I0+0+0+0], v[32:35]
/*  mfmaIndex:45  */
_ds_load_b32 v[vgprValuB_X0_I0+2], v[vgprLocalReadAddrB] offset:2176 // L -> Reg lro=0 swapByteOffset=0 ti=16 vIdx=2 rIdx=0 oIdx=0 buffer=0 iui=0
_ds_load_b32 v[vgprValuB_X0_I0+3], v[vgprLocalReadAddrB] offset:3264 // L -> Reg lro=0 swapByteOffset=0 ti=16 vIdx=3 rIdx=0 oIdx=0 buffer=0 iui=0
v_mfma_f32_16x16x4f32 v[36+0:39+0], v[vgprValuB_X3_I0+4+0+0], v[vgprValuA_X3_I0+1+0+0], v[36:39]
/*  mfmaIndex:46  */
_ds_load_b32 v[vgprValuB_X0_I0+4], v[vgprLocalReadAddrB] offset:4352 // L -> Reg lro=0 swapByteOffset=0 ti=16 vIdx=4 rIdx=0 oIdx=0 buffer=0 iui=0
_ds_load_b32 v[vgprValuB_X0_I0+5], v[vgprLocalReadAddrB] offset:5440 // L -> Reg lro=0 swapByteOffset=0 ti=16 vIdx=5 rIdx=0 oIdx=0 buffer=0 iui=0
v_mfma_f32_16x16x4f32 v[44+0:47+0], v[vgprValuB_X3_I0+5+0+0], v[vgprValuA_X3_I0+1+0+0], v[44:47]
/*  mfmaIndex:47  */
v_mfma_f32_16x16x4f32 v[40+0:43+0], v[vgprValuB_X3_I0+5+0+0], v[vgprValuA_X3_I0+0+0+0], v[40:43]

label_0014:


/******************************************/
/* Ord. NoLoadLoop - Begin                                      */
/******************************************/


	;; [unrolled: 1-line block ×4, first 2 shown]
/* iter 0 (last unrolled loop) */

/*  grEndMfmaIndex:0, lwStartMfmaIndex:40, lwEndMfmaIndex:40  */
/*  numMfmaForLR:5, barrierMfmaIndex:42, LocalWritePerMfma:0.540 */
/*  mfmaIndex:0  */
s_waitcnt lgkmcnt(0)                               // lgkmcnt=0 vmcnt=-1wait for prior local read local write old=0, new=0 newLW=0 newLR=0
v_mfma_f32_16x16x4f32 v[0+0:3+0], v[vgprValuB_X0_I0+0+0+0], v[vgprValuA_X0_I0+0+0+0], v[0:3]
/*  mfmaIndex:1  */
_ds_load_b32 v[vgprValuA_X1_I0+0], v[vgprLocalReadAddrA] offset:16 // L -> Reg lro=4 swapByteOffset=0 ti=64 vIdx=0 rIdx=0 oIdx=0 buffer=1 iui=0
_ds_load_b32 v[vgprValuB_X1_I0+0], v[vgprLocalReadAddrB] offset:16 // L -> Reg lro=4 swapByteOffset=0 ti=16 vIdx=0 rIdx=0 oIdx=0 buffer=1 iui=0
v_mfma_f32_16x16x4f32 v[4+0:7+0], v[vgprValuB_X0_I0+0+0+0], v[vgprValuA_X0_I0+1+0+0], v[4:7]
/*  mfmaIndex:2  */
_ds_load_b32 v[vgprValuA_X1_I0+1], v[vgprLocalReadAddrA] offset:4368 // L -> Reg lro=4 swapByteOffset=0 ti=64 vIdx=1 rIdx=0 oIdx=0 buffer=1 iui=0
_ds_load_b32 v[vgprValuB_X1_I0+1], v[vgprLocalReadAddrB] offset:1104 // L -> Reg lro=4 swapByteOffset=0 ti=16 vIdx=1 rIdx=0 oIdx=0 buffer=1 iui=0
v_mfma_f32_16x16x4f32 v[12+0:15+0], v[vgprValuB_X0_I0+1+0+0], v[vgprValuA_X0_I0+1+0+0], v[12:15]
/*  mfmaIndex:3  */
_ds_load_b32 v[vgprValuB_X1_I0+2], v[vgprLocalReadAddrB] offset:2192 // L -> Reg lro=4 swapByteOffset=0 ti=16 vIdx=2 rIdx=0 oIdx=0 buffer=1 iui=0
_ds_load_b32 v[vgprValuB_X1_I0+3], v[vgprLocalReadAddrB] offset:3280 // L -> Reg lro=4 swapByteOffset=0 ti=16 vIdx=3 rIdx=0 oIdx=0 buffer=1 iui=0
v_mfma_f32_16x16x4f32 v[8+0:11+0], v[vgprValuB_X0_I0+1+0+0], v[vgprValuA_X0_I0+0+0+0], v[8:11]
/*  mfmaIndex:4  */
_ds_load_b32 v[vgprValuB_X1_I0+4], v[vgprLocalReadAddrB] offset:4368 // L -> Reg lro=4 swapByteOffset=0 ti=16 vIdx=4 rIdx=0 oIdx=0 buffer=1 iui=0
_ds_load_b32 v[vgprValuB_X1_I0+5], v[vgprLocalReadAddrB] offset:5456 // L -> Reg lro=4 swapByteOffset=0 ti=16 vIdx=5 rIdx=0 oIdx=0 buffer=1 iui=0
/* localReadsVacancy: latencyLeft 1 */
v_mfma_f32_16x16x4f32 v[16+0:19+0], v[vgprValuB_X0_I0+2+0+0], v[vgprValuA_X0_I0+0+0+0], v[16:19]
/*  mfmaIndex:5  */
/* localReadsVacancy: latencyLeft 5 */
_ds_load_b32 v[vgprValuA_X2_I0+0], v[vgprLocalReadAddrA] offset:32 // L -> Reg lro=8 swapByteOffset=0 ti=64 vIdx=0 rIdx=0 oIdx=0 buffer=2 iui=0
_ds_load_b32 v[vgprValuB_X2_I0+0], v[vgprLocalReadAddrB] offset:32 // L -> Reg lro=8 swapByteOffset=0 ti=16 vIdx=0 rIdx=0 oIdx=0 buffer=2 iui=0
v_mfma_f32_16x16x4f32 v[20+0:23+0], v[vgprValuB_X0_I0+2+0+0], v[vgprValuA_X0_I0+1+0+0], v[20:23]
/*  mfmaIndex:6  */
/* localReadsVacancy: latencyLeft 5 */
_ds_load_b32 v[vgprValuA_X2_I0+1], v[vgprLocalReadAddrA] offset:4384 // L -> Reg lro=8 swapByteOffset=0 ti=64 vIdx=1 rIdx=0 oIdx=0 buffer=2 iui=0
_ds_load_b32 v[vgprValuB_X2_I0+1], v[vgprLocalReadAddrB] offset:1120 // L -> Reg lro=8 swapByteOffset=0 ti=16 vIdx=1 rIdx=0 oIdx=0 buffer=2 iui=0
v_mfma_f32_16x16x4f32 v[28+0:31+0], v[vgprValuB_X0_I0+3+0+0], v[vgprValuA_X0_I0+1+0+0], v[28:31]
/*  mfmaIndex:7  */
/* localReadsVacancy: latencyLeft 5 */
_ds_load_b32 v[vgprValuB_X2_I0+2], v[vgprLocalReadAddrB] offset:2208 // L -> Reg lro=8 swapByteOffset=0 ti=16 vIdx=2 rIdx=0 oIdx=0 buffer=2 iui=0
_ds_load_b32 v[vgprValuB_X2_I0+3], v[vgprLocalReadAddrB] offset:3296 // L -> Reg lro=8 swapByteOffset=0 ti=16 vIdx=3 rIdx=0 oIdx=0 buffer=2 iui=0
v_mfma_f32_16x16x4f32 v[24+0:27+0], v[vgprValuB_X0_I0+3+0+0], v[vgprValuA_X0_I0+0+0+0], v[24:27]
/*  mfmaIndex:8  */
/* localReadsVacancy: latencyLeft 5 */
_ds_load_b32 v[vgprValuB_X2_I0+4], v[vgprLocalReadAddrB] offset:4384 // L -> Reg lro=8 swapByteOffset=0 ti=16 vIdx=4 rIdx=0 oIdx=0 buffer=2 iui=0
_ds_load_b32 v[vgprValuB_X2_I0+5], v[vgprLocalReadAddrB] offset:5472 // L -> Reg lro=8 swapByteOffset=0 ti=16 vIdx=5 rIdx=0 oIdx=0 buffer=2 iui=0
v_mfma_f32_16x16x4f32 v[32+0:35+0], v[vgprValuB_X0_I0+4+0+0], v[vgprValuA_X0_I0+0+0+0], v[32:35]
/*  mfmaIndex:9  */
/* localReadsVacancy: latencyLeft 5 */
_ds_load_b32 v[vgprValuA_X3_I0+0], v[vgprLocalReadAddrA] offset:48 // L -> Reg lro=12 swapByteOffset=0 ti=64 vIdx=0 rIdx=0 oIdx=0 buffer=3 iui=0
_ds_load_b32 v[vgprValuB_X3_I0+0], v[vgprLocalReadAddrB] offset:48 // L -> Reg lro=12 swapByteOffset=0 ti=16 vIdx=0 rIdx=0 oIdx=0 buffer=3 iui=0
v_mfma_f32_16x16x4f32 v[36+0:39+0], v[vgprValuB_X0_I0+4+0+0], v[vgprValuA_X0_I0+1+0+0], v[36:39]
/*  mfmaIndex:10  */
/* localReadsVacancy: latencyLeft 5 */
_ds_load_b32 v[vgprValuA_X3_I0+1], v[vgprLocalReadAddrA] offset:4400 // L -> Reg lro=12 swapByteOffset=0 ti=64 vIdx=1 rIdx=0 oIdx=0 buffer=3 iui=0
_ds_load_b32 v[vgprValuB_X3_I0+1], v[vgprLocalReadAddrB] offset:1136 // L -> Reg lro=12 swapByteOffset=0 ti=16 vIdx=1 rIdx=0 oIdx=0 buffer=3 iui=0
v_mfma_f32_16x16x4f32 v[44+0:47+0], v[vgprValuB_X0_I0+5+0+0], v[vgprValuA_X0_I0+1+0+0], v[44:47]
/*  mfmaIndex:11  */
/* localReadsVacancy: latencyLeft 5 */
_ds_load_b32 v[vgprValuB_X3_I0+2], v[vgprLocalReadAddrB] offset:2224 // L -> Reg lro=12 swapByteOffset=0 ti=16 vIdx=2 rIdx=0 oIdx=0 buffer=3 iui=0
_ds_load_b32 v[vgprValuB_X3_I0+3], v[vgprLocalReadAddrB] offset:3312 // L -> Reg lro=12 swapByteOffset=0 ti=16 vIdx=3 rIdx=0 oIdx=0 buffer=3 iui=0
v_mfma_f32_16x16x4f32 v[40+0:43+0], v[vgprValuB_X0_I0+5+0+0], v[vgprValuA_X0_I0+0+0+0], v[40:43]
/* numPrefetchIter=0 */
/* dataAtIterA=-1 numReadsIterA=1 skipReadsIterA=1 readsPerIterA=2 */
/* dataAtIterB=-1 numReadsIterB=1 skipReadsIterB=1 readsPerIterB=6 */


/* iter 1 (last unrolled loop) */

/*  grEndMfmaIndex:0, lwStartMfmaIndex:40, lwEndMfmaIndex:40  */
/*  numMfmaForLR:5, barrierMfmaIndex:42, LocalWritePerMfma:0.540 */
/*  mfmaIndex:12  */
/* localReadsVacancy: latencyLeft 5 */
_ds_load_b32 v[vgprValuB_X3_I0+4], v[vgprLocalReadAddrB] offset:4400 // L -> Reg lro=12 swapByteOffset=0 ti=16 vIdx=4 rIdx=0 oIdx=0 buffer=3 iui=0
_ds_load_b32 v[vgprValuB_X3_I0+5], v[vgprLocalReadAddrB] offset:5488 // L -> Reg lro=12 swapByteOffset=0 ti=16 vIdx=5 rIdx=0 oIdx=0 buffer=3 iui=0
s_waitcnt lgkmcnt(15)                              // lgkmcnt=0 vmcnt=-1wait for prior local read local write old=8, new=8 newLW=0 newLR=0
v_mfma_f32_16x16x4f32 v[0+0:3+0], v[vgprValuB_X1_I0+0+0+0], v[vgprValuA_X1_I0+0+0+0], v[0:3]
/*  mfmaIndex:13  */
/* localReadsVacancy: latencyLeft 5 */
v_mfma_f32_16x16x4f32 v[4+0:7+0], v[vgprValuB_X1_I0+0+0+0], v[vgprValuA_X1_I0+1+0+0], v[4:7]
/*  mfmaIndex:14  */
/* localReadsVacancy: latencyLeft 5 */
	;; [unrolled: 3-line block ×11, first 2 shown]
v_mfma_f32_16x16x4f32 v[40+0:43+0], v[vgprValuB_X1_I0+5+0+0], v[vgprValuA_X1_I0+0+0+0], v[40:43]
/* numPrefetchIter=0 */
/* dataAtIterA=0 numReadsIterA=2 skipReadsIterA=1 readsPerIterA=2 */
/* dataAtIterB=0 numReadsIterB=2 skipReadsIterB=1 readsPerIterB=6 */


/* iter 2 (last unrolled loop) */

/*  grEndMfmaIndex:0, lwStartMfmaIndex:40, lwEndMfmaIndex:40  */
/*  numMfmaForLR:5, barrierMfmaIndex:42, LocalWritePerMfma:0.540 */
/*  mfmaIndex:24  */
/* localReadsVacancy: latencyLeft 5 */
s_waitcnt lgkmcnt(2)                               // lgkmcnt=0 vmcnt=-1wait for prior local read local write old=2, new=2 newLW=0 newLR=0
v_mfma_f32_16x16x4f32 v[0+0:3+0], v[vgprValuB_X2_I0+0+0+0], v[vgprValuA_X2_I0+0+0+0], v[0:3]
/*  mfmaIndex:25  */
/* localReadsVacancy: latencyLeft 5 */
v_mfma_f32_16x16x4f32 v[4+0:7+0], v[vgprValuB_X2_I0+0+0+0], v[vgprValuA_X2_I0+1+0+0], v[4:7]
/*  mfmaIndex:26  */
/* localReadsVacancy: latencyLeft 5 */
	;; [unrolled: 3-line block ×11, first 2 shown]
v_mfma_f32_16x16x4f32 v[40+0:43+0], v[vgprValuB_X2_I0+5+0+0], v[vgprValuA_X2_I0+0+0+0], v[40:43]
/* numPrefetchIter=0 */
/* dataAtIterA=1 numReadsIterA=3 skipReadsIterA=1 readsPerIterA=2 */
/* dataAtIterB=1 numReadsIterB=3 skipReadsIterB=1 readsPerIterB=6 */


/* iter 3 (last unrolled loop) */

/*  grEndMfmaIndex:0, lwStartMfmaIndex:40, lwEndMfmaIndex:40  */
/*  numMfmaForLR:5, barrierMfmaIndex:42, LocalWritePerMfma:0.540 */
/*  mfmaIndex:36  */
s_waitcnt lgkmcnt(0)                               // lgkmcnt=0 vmcnt=-1wait for prior local read local write old=0, new=0 newLW=0 newLR=0
v_mfma_f32_16x16x4f32 v[0+0:3+0], v[vgprValuB_X3_I0+0+0+0], v[vgprValuA_X3_I0+0+0+0], v[0:3]
/*  mfmaIndex:37  */
v_mfma_f32_16x16x4f32 v[4+0:7+0], v[vgprValuB_X3_I0+0+0+0], v[vgprValuA_X3_I0+1+0+0], v[4:7]
/*  mfmaIndex:38  */
	;; [unrolled: 2-line block ×3, first 2 shown]
/* 1 LDS buffer: read-sync-write */
s_waitcnt lgkmcnt(0)                               // 
s_barrier                                          // 
v_mfma_f32_16x16x4f32 v[8+0:11+0], v[vgprValuB_X3_I0+1+0+0], v[vgprValuA_X3_I0+0+0+0], v[8:11]
/*  mfmaIndex:40  */
v_mfma_f32_16x16x4f32 v[16+0:19+0], v[vgprValuB_X3_I0+2+0+0], v[vgprValuA_X3_I0+0+0+0], v[16:19]
/*  mfmaIndex:41  */
	;; [unrolled: 2-line block ×8, first 2 shown]
v_mfma_f32_16x16x4f32 v[40+0:43+0], v[vgprValuB_X3_I0+5+0+0], v[vgprValuA_X3_I0+0+0+0], v[40:43]
/* numPrefetchIter=0 */
/* dataAtIterA=2 numReadsIterA=3 skipReadsIterA=0 readsPerIterA=2 */
/* dataAtIterB=2 numReadsIterB=3 skipReadsIterB=0 readsPerIterB=6 */

PrefetchGlobalLastIterEnd_5:


/******************************************/
/* Tail Loop                              */
/******************************************/


/* local write reset offsets a */


	;; [unrolled: 1-line block ×3, first 2 shown]
/* local write reset offsets b */


	;; [unrolled: 1-line block ×3, first 2 shown]
//numIterL = (((sizeL % LOCAL_DEPTHU) + LOCAL_SPLITU - 1) / LOCAL_SPLITU)
s_and_b32 s[sgprLoopCounterL], 15, s[sgprSizesSum+0] // s[sgprLoopCounterL] = s[sgprSizesSum+0] % 16
s_cmp_eq_u32 s[sgprLoopCounterL], 0x0              // numIterL == 0
s_cbranch_scc1 SkipTailLoopL_8                     // skip to end of tail loop b/c numIter==0
s_mov_b32 s[sgprOrigLoopCounter], 0                // repurpose to count each localRead increment


/* Update M0 for DTLDS */


	;; [unrolled: 1-line block ×3, first 2 shown]
/* global read a */

/* global addressing - max read address = Tensor2dSizeA */
s_mul_hi_u32 s1, s[sgprWorkGroup2], s[sgprStrideAK] // 64b tensorA size in elements
s_mul_i32 s0, s[sgprWorkGroup2], s[sgprStrideAK]   // 64b tensorA size in elements
s_add_u32 s0, s[sgprTensor2dSizeA], s0             // add Tensor2dSizeA
s_addc_u32 s1, s[sgprTensor2dSizeA+1], s1          // add Tensor2dSizeA
s_lshl_b64 s[0:1], s[0:1], 0x2                     // <- tensorA size in bytes
s_add_u32 s0, s16, s0                              // prepend address lower
s_addc_u32 s1, s17, s1                             // prepend address upper
v_mov_b32 v132, s0                                 // sgpr->vgpr
v_mov_b32 v133, s1                                 // sgpr->vgpr
s_mov_b64 s[0:1], 0xFFFFFFFFFFFFFFFF               // to restore all threads active
v_mov_b32 v131, 0x4                                // bpe*numElementsPerLoad
v_mov_b32 v134, 0x0                                // zero
/* g2l=0, load component 0 */
_v_cmpx_lt_u64 vcc, v[vgprGlobalReadAddrA+0:vgprGlobalReadAddrA+0+1], v[132:133] // addr < maxAddr
_global_load_b32 v[vgprG2LA+0+0], v[vgprGlobalReadAddrA+0:vgprGlobalReadAddrA+0+1], off, offset:0 // load one global value
s_or_saveexec_b64 vcc, s[0:1]                      // all threads active
_v_add_co_u32 v[vgprGlobalReadAddrA+0+0], vcc, v[vgprGlobalReadAddrA+0+0], v131 // gra += 1 (lower)
_v_addc_co_u32 v[vgprGlobalReadAddrA+0+1], vcc, v[vgprGlobalReadAddrA+0+1], v134, vcc // gra += 1 (upper)
/* g2l=1, load component 0 */
_v_cmpx_lt_u64 vcc, v[vgprGlobalReadAddrA+2:vgprGlobalReadAddrA+2+1], v[132:133] // addr < maxAddr
_global_load_b32 v[vgprG2LA+1+0], v[vgprGlobalReadAddrA+2:vgprGlobalReadAddrA+2+1], off, offset:0 // load one global value
s_or_saveexec_b64 vcc, s[0:1]                      // all threads active
_v_add_co_u32 v[vgprGlobalReadAddrA+2+0], vcc, v[vgprGlobalReadAddrA+2+0], v131 // gra += 1 (lower)
_v_addc_co_u32 v[vgprGlobalReadAddrA+2+1], vcc, v[vgprGlobalReadAddrA+2+1], v134, vcc // gra += 1 (upper)
	;; [unrolled: 6-line block ×8, first 2 shown]


/* Update M0 for DTLDS */


	;; [unrolled: 1-line block ×3, first 2 shown]
/* global read b */

/* global addressing - max read address = Tensor2dSizeB */
s_mul_hi_u32 s1, s[sgprWorkGroup2], s[sgprStrideBK] // 64b tensorB size in elements
s_mul_i32 s0, s[sgprWorkGroup2], s[sgprStrideBK]   // 64b tensorB size in elements
s_add_u32 s0, s[sgprTensor2dSizeB], s0             // add Tensor2dSizeB
s_addc_u32 s1, s[sgprTensor2dSizeB+1], s1          // add Tensor2dSizeB
s_lshl_b64 s[0:1], s[0:1], 0x2                     // <- tensorB size in bytes
s_add_u32 s0, s18, s0                              // prepend address lower
s_addc_u32 s1, s19, s1                             // prepend address upper
v_mov_b32 v132, s0                                 // sgpr->vgpr
v_mov_b32 v133, s1                                 // sgpr->vgpr
s_mov_b64 s[0:1], 0xFFFFFFFFFFFFFFFF               // to restore all threads active
v_mov_b32 v131, 0x4                                // bpe*numElementsPerLoad
v_mov_b32 v134, 0x0                                // zero
/* g2l=0, load component 0 */
_v_cmpx_lt_u64 vcc, v[vgprGlobalReadAddrB+0:vgprGlobalReadAddrB+0+1], v[132:133] // addr < maxAddr
_global_load_b32 v[vgprG2LB+0+0], v[vgprGlobalReadAddrB+0:vgprGlobalReadAddrB+0+1], off, offset:0 // load one global value
s_or_saveexec_b64 vcc, s[0:1]                      // all threads active
_v_add_co_u32 v[vgprGlobalReadAddrB+0+0], vcc, v[vgprGlobalReadAddrB+0+0], v131 // gra += 1 (lower)
_v_addc_co_u32 v[vgprGlobalReadAddrB+0+1], vcc, v[vgprGlobalReadAddrB+0+1], v134, vcc // gra += 1 (upper)
/* g2l=1, load component 0 */
_v_cmpx_lt_u64 vcc, v[vgprGlobalReadAddrB+2:vgprGlobalReadAddrB+2+1], v[132:133] // addr < maxAddr
_global_load_b32 v[vgprG2LB+1+0], v[vgprGlobalReadAddrB+2:vgprGlobalReadAddrB+2+1], off, offset:0 // load one global value
s_or_saveexec_b64 vcc, s[0:1]                      // all threads active
_v_add_co_u32 v[vgprGlobalReadAddrB+2+0], vcc, v[vgprGlobalReadAddrB+2+0], v131 // gra += 1 (lower)
_v_addc_co_u32 v[vgprGlobalReadAddrB+2+1], vcc, v[vgprGlobalReadAddrB+2+1], v134, vcc // gra += 1 (upper)
	;; [unrolled: 6-line block ×6, first 2 shown]

s_waitcnt vmcnt(0)                                 // lgkmcnt=-1 vmcnt=02wait for global read

// Skip force waitcnt0
s_barrier //


/* Done global A/B reads */


	;; [unrolled: 1-line block ×4, first 2 shown]
/* local write a */

_ds_store_b32 v[vgprLocalWriteAddrA], v[vgprG2LA+0] offset:0 // lwoA_0_0_0_0 = (0*LSCA)*(MT0I+PAD) + (0*LSPA) = 0
_ds_store_b32 v[vgprLocalWriteAddrA], v[vgprG2LA+1] offset:1088 // lwoA_0_0_1_0 = (0*LSCA)*(MT0I+PAD) + (1*LSPA) = 1088
_ds_store_b32 v[vgprLocalWriteAddrA], v[vgprG2LA+2] offset:2176 // lwoA_0_0_2_0 = (0*LSCA)*(MT0I+PAD) + (2*LSPA) = 2176
_ds_store_b32 v[vgprLocalWriteAddrA], v[vgprG2LA+3] offset:3264 // lwoA_0_0_3_0 = (0*LSCA)*(MT0I+PAD) + (3*LSPA) = 3264
_ds_store_b32 v[vgprLocalWriteAddrA], v[vgprG2LA+4] offset:4352 // lwoA_0_0_4_0 = (0*LSCA)*(MT0I+PAD) + (4*LSPA) = 4352
_ds_store_b32 v[vgprLocalWriteAddrA], v[vgprG2LA+5] offset:5440 // lwoA_0_0_5_0 = (0*LSCA)*(MT0I+PAD) + (5*LSPA) = 5440
_ds_store_b32 v[vgprLocalWriteAddrA], v[vgprG2LA+6] offset:6528 // lwoA_0_0_6_0 = (0*LSCA)*(MT0I+PAD) + (6*LSPA) = 6528
_ds_store_b32 v[vgprLocalWriteAddrA], v[vgprG2LA+7] offset:7616 // lwoA_0_0_7_0 = (0*LSCA)*(MT0I+PAD) + (7*LSPA) = 7616


/* local write b */

_ds_store_b32 v[vgprLocalWriteAddrB], v[vgprG2LB+0] offset:0 // lwoB_0_0_0_0 = (0*LSCB)*(MT1J+PAD) + (0*LSPB) = 0
_ds_store_b32 v[vgprLocalWriteAddrB], v[vgprG2LB+1] offset:1088 // lwoB_0_0_1_0 = (0*LSCB)*(MT1J+PAD) + (1*LSPB) = 1088
_ds_store_b32 v[vgprLocalWriteAddrB], v[vgprG2LB+2] offset:2176 // lwoB_0_0_2_0 = (0*LSCB)*(MT1J+PAD) + (2*LSPB) = 2176
_ds_store_b32 v[vgprLocalWriteAddrB], v[vgprG2LB+3] offset:3264 // lwoB_0_0_3_0 = (0*LSCB)*(MT1J+PAD) + (3*LSPB) = 3264
_ds_store_b32 v[vgprLocalWriteAddrB], v[vgprG2LB+4] offset:4352 // lwoB_0_0_4_0 = (0*LSCB)*(MT1J+PAD) + (4*LSPB) = 4352
_ds_store_b32 v[vgprLocalWriteAddrB], v[vgprG2LB+5] offset:5440 // lwoB_0_0_5_0 = (0*LSCB)*(MT1J+PAD) + (5*LSPB) = 5440


/* Recalc local read offsets */


s_waitcnt lgkmcnt(0)                               // lgkmcnt=0 vmcnt=-15wait for local write

// Skip force waitcnt0
s_barrier //


/* local read reset offsets a */


	;; [unrolled: 1-line block ×3, first 2 shown]
/* local read reset offsets b */



/* local read init pointers a */


/* localReadInitPointers */


/* local read init pointers b */


/* localReadInitPointers */


/* tail loop: macs */

TailLoopBeginL_6:


/* tail loop unroll iter 0 */


/* local read a */

_ds_load_b32 v[vgprValuA_X0_I0+0], v[vgprLocalReadAddrA] offset:0 // L -> Reg lro=0 swapByteOffset=0 ti=64 vIdx=0 rIdx=0 oIdx=0 buffer=0 iui=0
_ds_load_b32 v[vgprValuA_X0_I0+1], v[vgprLocalReadAddrA] offset:4352 // L -> Reg lro=0 swapByteOffset=0 ti=64 vIdx=1 rIdx=0 oIdx=0 buffer=0 iui=0


/* local read b */

_ds_load_b32 v[vgprValuB_X0_I0+0], v[vgprLocalReadAddrB] offset:0 // L -> Reg lro=0 swapByteOffset=0 ti=16 vIdx=0 rIdx=0 oIdx=0 buffer=0 iui=0
_ds_load_b32 v[vgprValuB_X0_I0+1], v[vgprLocalReadAddrB] offset:1088 // L -> Reg lro=0 swapByteOffset=0 ti=16 vIdx=1 rIdx=0 oIdx=0 buffer=0 iui=0
	;; [unrolled: 1-line block ×6, first 2 shown]


/* local read inc a */

s_mov_b32 s0, 0x10                                 // inc
_v_add_co_u32 v[vgprLocalReadAddrA], vcc, s0, v[vgprLocalReadAddrA] // lrA += 16 (LSU*bpe)


/* local read inc b */

s_mov_b32 s0, 0x10                                 // inc
_v_add_co_u32 v[vgprLocalReadAddrB], vcc, s0, v[vgprLocalReadAddrB] // lrB += 16 (LSU*bpe)

s_waitcnt lgkmcnt(0)                               // lgkmcnt=0 vmcnt=-14wait for local read


	;; [unrolled: 1-line block ×3, first 2 shown]
/* tail loop mfma iter 0: numReadsIterCoalescedA=1, numReadsIterCoalescedB=1 */
v_and_b32 v131, 63, v[vgprSerial]                  // v131 = v[vgprSerial] % 64
v_lshrrev_b32 v131, 4, v131                        // v131 = v131 / 16
                                                   // v131 = v131 * 1 (multiplier is 1, do nothing)
v_cmp_ge_i32 s[40:41], v131, s[sgprLoopCounterL]   // check K index >= Size L
v_cndmask_b32 v[vgprValuA_X0_I0+0+0+0+0], v[vgprValuA_X0_I0+0+0+0+0], 0x0, s[40:41] // set 0 if K_idx >= sizeL
v_cndmask_b32 v[vgprValuA_X0_I0+1+0+0+0], v[vgprValuA_X0_I0+1+0+0+0], 0x0, s[40:41] // set 0 if K_idx >= sizeL
v_cndmask_b32 v[vgprValuB_X0_I0+0+0+0+0], v[vgprValuB_X0_I0+0+0+0+0], 0x0, s[40:41] // set 0 if K_idx >= sizeL
v_cndmask_b32 v[vgprValuB_X0_I0+1+0+0+0], v[vgprValuB_X0_I0+1+0+0+0], 0x0, s[40:41] // set 0 if K_idx >= sizeL
	;; [unrolled: 1-line block ×6, first 2 shown]
s_nop 1
v_mfma_f32_16x16x4f32 v[0+0:3+0], v[vgprValuB_X0_I0+0+0+0], v[vgprValuA_X0_I0+0+0+0], v[0:3]
v_mfma_f32_16x16x4f32 v[4+0:7+0], v[vgprValuB_X0_I0+0+0+0], v[vgprValuA_X0_I0+1+0+0], v[4:7]
	;; [unrolled: 1-line block ×12, first 2 shown]


/* closeLoop loopL finalLoop=0 tailLoop=1 */
s_sub_i32 s[sgprLoopCounterL], s[sgprLoopCounterL], 0x4 // dec counterL (tailLoop)
s_add_u32 s[sgprOrigLoopCounter], s[sgprOrigLoopCounter], 0x4 // inc counterL
s_cmp_le_i32 s[sgprLoopCounterL], 0x0              // counterL<=0
s_cbranch_scc1 TailLoopEndL_7                      // exit LoopL


/* tail loop unroll iter 1 */


/* local read a */

_ds_load_b32 v[vgprValuA_X1_I0+0], v[vgprLocalReadAddrA] offset:0 // L -> Reg lro=0 swapByteOffset=0 ti=64 vIdx=0 rIdx=0 oIdx=0 buffer=1 iui=0
_ds_load_b32 v[vgprValuA_X1_I0+1], v[vgprLocalReadAddrA] offset:4352 // L -> Reg lro=0 swapByteOffset=0 ti=64 vIdx=1 rIdx=0 oIdx=0 buffer=1 iui=0


/* local read b */

_ds_load_b32 v[vgprValuB_X1_I0+0], v[vgprLocalReadAddrB] offset:0 // L -> Reg lro=0 swapByteOffset=0 ti=16 vIdx=0 rIdx=0 oIdx=0 buffer=1 iui=0
_ds_load_b32 v[vgprValuB_X1_I0+1], v[vgprLocalReadAddrB] offset:1088 // L -> Reg lro=0 swapByteOffset=0 ti=16 vIdx=1 rIdx=0 oIdx=0 buffer=1 iui=0
	;; [unrolled: 1-line block ×6, first 2 shown]


/* local read inc a */

s_mov_b32 s0, 0x10                                 // inc
_v_add_co_u32 v[vgprLocalReadAddrA], vcc, s0, v[vgprLocalReadAddrA] // lrA += 16 (LSU*bpe)


/* local read inc b */

s_mov_b32 s0, 0x10                                 // inc
_v_add_co_u32 v[vgprLocalReadAddrB], vcc, s0, v[vgprLocalReadAddrB] // lrB += 16 (LSU*bpe)

s_waitcnt lgkmcnt(0)                               // lgkmcnt=0 vmcnt=-14wait for local read


	;; [unrolled: 1-line block ×3, first 2 shown]
/* tail loop mfma iter 1: numReadsIterCoalescedA=1, numReadsIterCoalescedB=1 */
v_and_b32 v131, 63, v[vgprSerial]                  // v131 = v[vgprSerial] % 64
v_lshrrev_b32 v131, 4, v131                        // v131 = v131 / 16
                                                   // v131 = v131 * 1 (multiplier is 1, do nothing)
v_cmp_ge_i32 s[40:41], v131, s[sgprLoopCounterL]   // check K index >= Size L
v_cndmask_b32 v[vgprValuA_X1_I0+0+0+0+0], v[vgprValuA_X1_I0+0+0+0+0], 0x0, s[40:41] // set 0 if K_idx >= sizeL
v_cndmask_b32 v[vgprValuA_X1_I0+1+0+0+0], v[vgprValuA_X1_I0+1+0+0+0], 0x0, s[40:41] // set 0 if K_idx >= sizeL
v_cndmask_b32 v[vgprValuB_X1_I0+0+0+0+0], v[vgprValuB_X1_I0+0+0+0+0], 0x0, s[40:41] // set 0 if K_idx >= sizeL
v_cndmask_b32 v[vgprValuB_X1_I0+1+0+0+0], v[vgprValuB_X1_I0+1+0+0+0], 0x0, s[40:41] // set 0 if K_idx >= sizeL
	;; [unrolled: 1-line block ×6, first 2 shown]
s_nop 1
v_mfma_f32_16x16x4f32 v[0+0:3+0], v[vgprValuB_X1_I0+0+0+0], v[vgprValuA_X1_I0+0+0+0], v[0:3]
v_mfma_f32_16x16x4f32 v[4+0:7+0], v[vgprValuB_X1_I0+0+0+0], v[vgprValuA_X1_I0+1+0+0], v[4:7]
	;; [unrolled: 1-line block ×12, first 2 shown]


/* closeLoop loopL finalLoop=0 tailLoop=1 */
s_sub_i32 s[sgprLoopCounterL], s[sgprLoopCounterL], 0x4 // dec counterL (tailLoop)
s_add_u32 s[sgprOrigLoopCounter], s[sgprOrigLoopCounter], 0x4 // inc counterL
s_cmp_le_i32 s[sgprLoopCounterL], 0x0              // counterL<=0
s_cbranch_scc1 TailLoopEndL_7                      // exit LoopL


/* tail loop unroll iter 2 */


/* local read a */

_ds_load_b32 v[vgprValuA_X2_I0+0], v[vgprLocalReadAddrA] offset:0 // L -> Reg lro=0 swapByteOffset=0 ti=64 vIdx=0 rIdx=0 oIdx=0 buffer=2 iui=0
_ds_load_b32 v[vgprValuA_X2_I0+1], v[vgprLocalReadAddrA] offset:4352 // L -> Reg lro=0 swapByteOffset=0 ti=64 vIdx=1 rIdx=0 oIdx=0 buffer=2 iui=0


/* local read b */

_ds_load_b32 v[vgprValuB_X2_I0+0], v[vgprLocalReadAddrB] offset:0 // L -> Reg lro=0 swapByteOffset=0 ti=16 vIdx=0 rIdx=0 oIdx=0 buffer=2 iui=0
_ds_load_b32 v[vgprValuB_X2_I0+1], v[vgprLocalReadAddrB] offset:1088 // L -> Reg lro=0 swapByteOffset=0 ti=16 vIdx=1 rIdx=0 oIdx=0 buffer=2 iui=0
	;; [unrolled: 1-line block ×6, first 2 shown]


/* local read inc a */

s_mov_b32 s0, 0x10                                 // inc
_v_add_co_u32 v[vgprLocalReadAddrA], vcc, s0, v[vgprLocalReadAddrA] // lrA += 16 (LSU*bpe)


/* local read inc b */

s_mov_b32 s0, 0x10                                 // inc
_v_add_co_u32 v[vgprLocalReadAddrB], vcc, s0, v[vgprLocalReadAddrB] // lrB += 16 (LSU*bpe)

s_waitcnt lgkmcnt(0)                               // lgkmcnt=0 vmcnt=-14wait for local read



/* tail loop mfma iter 2: numReadsIterCoalescedA=1, numReadsIterCoalescedB=1 */
v_and_b32 v131, 63, v[vgprSerial]                  // v131 = v[vgprSerial] % 64
v_lshrrev_b32 v131, 4, v131                        // v131 = v131 / 16
                                                   // v131 = v131 * 1 (multiplier is 1, do nothing)
v_cmp_ge_i32 s[40:41], v131, s[sgprLoopCounterL]   // check K index >= Size L
v_cndmask_b32 v[vgprValuA_X2_I0+0+0+0+0], v[vgprValuA_X2_I0+0+0+0+0], 0x0, s[40:41] // set 0 if K_idx >= sizeL
v_cndmask_b32 v[vgprValuA_X2_I0+1+0+0+0], v[vgprValuA_X2_I0+1+0+0+0], 0x0, s[40:41] // set 0 if K_idx >= sizeL
v_cndmask_b32 v[vgprValuB_X2_I0+0+0+0+0], v[vgprValuB_X2_I0+0+0+0+0], 0x0, s[40:41] // set 0 if K_idx >= sizeL
v_cndmask_b32 v[vgprValuB_X2_I0+1+0+0+0], v[vgprValuB_X2_I0+1+0+0+0], 0x0, s[40:41] // set 0 if K_idx >= sizeL
	;; [unrolled: 1-line block ×6, first 2 shown]
s_nop 1
v_mfma_f32_16x16x4f32 v[0+0:3+0], v[vgprValuB_X2_I0+0+0+0], v[vgprValuA_X2_I0+0+0+0], v[0:3]
v_mfma_f32_16x16x4f32 v[4+0:7+0], v[vgprValuB_X2_I0+0+0+0], v[vgprValuA_X2_I0+1+0+0], v[4:7]
	;; [unrolled: 1-line block ×12, first 2 shown]


/* closeLoop loopL finalLoop=0 tailLoop=1 */
s_sub_i32 s[sgprLoopCounterL], s[sgprLoopCounterL], 0x4 // dec counterL (tailLoop)
s_add_u32 s[sgprOrigLoopCounter], s[sgprOrigLoopCounter], 0x4 // inc counterL
s_cmp_le_i32 s[sgprLoopCounterL], 0x0              // counterL<=0
s_cbranch_scc1 TailLoopEndL_7                      // exit LoopL


/* tail loop unroll iter 3 */


/* local read a */

_ds_load_b32 v[vgprValuA_X3_I0+0], v[vgprLocalReadAddrA] offset:0 // L -> Reg lro=0 swapByteOffset=0 ti=64 vIdx=0 rIdx=0 oIdx=0 buffer=3 iui=0
_ds_load_b32 v[vgprValuA_X3_I0+1], v[vgprLocalReadAddrA] offset:4352 // L -> Reg lro=0 swapByteOffset=0 ti=64 vIdx=1 rIdx=0 oIdx=0 buffer=3 iui=0


/* local read b */

_ds_load_b32 v[vgprValuB_X3_I0+0], v[vgprLocalReadAddrB] offset:0 // L -> Reg lro=0 swapByteOffset=0 ti=16 vIdx=0 rIdx=0 oIdx=0 buffer=3 iui=0
_ds_load_b32 v[vgprValuB_X3_I0+1], v[vgprLocalReadAddrB] offset:1088 // L -> Reg lro=0 swapByteOffset=0 ti=16 vIdx=1 rIdx=0 oIdx=0 buffer=3 iui=0
_ds_load_b32 v[vgprValuB_X3_I0+2], v[vgprLocalReadAddrB] offset:2176 // L -> Reg lro=0 swapByteOffset=0 ti=16 vIdx=2 rIdx=0 oIdx=0 buffer=3 iui=0
_ds_load_b32 v[vgprValuB_X3_I0+3], v[vgprLocalReadAddrB] offset:3264 // L -> Reg lro=0 swapByteOffset=0 ti=16 vIdx=3 rIdx=0 oIdx=0 buffer=3 iui=0
_ds_load_b32 v[vgprValuB_X3_I0+4], v[vgprLocalReadAddrB] offset:4352 // L -> Reg lro=0 swapByteOffset=0 ti=16 vIdx=4 rIdx=0 oIdx=0 buffer=3 iui=0
_ds_load_b32 v[vgprValuB_X3_I0+5], v[vgprLocalReadAddrB] offset:5440 // L -> Reg lro=0 swapByteOffset=0 ti=16 vIdx=5 rIdx=0 oIdx=0 buffer=3 iui=0


/* local read inc a */

s_mov_b32 s0, 0x10                                 // inc
_v_add_co_u32 v[vgprLocalReadAddrA], vcc, s0, v[vgprLocalReadAddrA] // lrA += 16 (LSU*bpe)


/* local read inc b */

s_mov_b32 s0, 0x10                                 // inc
_v_add_co_u32 v[vgprLocalReadAddrB], vcc, s0, v[vgprLocalReadAddrB] // lrB += 16 (LSU*bpe)

s_waitcnt lgkmcnt(0)                               // lgkmcnt=0 vmcnt=-14wait for local read


	;; [unrolled: 1-line block ×3, first 2 shown]
/* tail loop mfma iter 3: numReadsIterCoalescedA=1, numReadsIterCoalescedB=1 */
v_and_b32 v131, 63, v[vgprSerial]                  // v131 = v[vgprSerial] % 64
v_lshrrev_b32 v131, 4, v131                        // v131 = v131 / 16
                                                   // v131 = v131 * 1 (multiplier is 1, do nothing)
v_cmp_ge_i32 s[40:41], v131, s[sgprLoopCounterL]   // check K index >= Size L
v_cndmask_b32 v[vgprValuA_X3_I0+0+0+0+0], v[vgprValuA_X3_I0+0+0+0+0], 0x0, s[40:41] // set 0 if K_idx >= sizeL
v_cndmask_b32 v[vgprValuA_X3_I0+1+0+0+0], v[vgprValuA_X3_I0+1+0+0+0], 0x0, s[40:41] // set 0 if K_idx >= sizeL
v_cndmask_b32 v[vgprValuB_X3_I0+0+0+0+0], v[vgprValuB_X3_I0+0+0+0+0], 0x0, s[40:41] // set 0 if K_idx >= sizeL
v_cndmask_b32 v[vgprValuB_X3_I0+1+0+0+0], v[vgprValuB_X3_I0+1+0+0+0], 0x0, s[40:41] // set 0 if K_idx >= sizeL
	;; [unrolled: 1-line block ×6, first 2 shown]
s_nop 1
v_mfma_f32_16x16x4f32 v[0+0:3+0], v[vgprValuB_X3_I0+0+0+0], v[vgprValuA_X3_I0+0+0+0], v[0:3]
v_mfma_f32_16x16x4f32 v[4+0:7+0], v[vgprValuB_X3_I0+0+0+0], v[vgprValuA_X3_I0+1+0+0], v[4:7]
	;; [unrolled: 1-line block ×12, first 2 shown]


/* closeLoop loopL finalLoop=1 tailLoop=1 */
s_sub_i32 s[sgprLoopCounterL], s[sgprLoopCounterL], 0x4 // dec counterL (tailLoop)
s_add_u32 s[sgprOrigLoopCounter], s[sgprOrigLoopCounter], 0x4 // inc counterL
s_cmp_le_i32 s[sgprLoopCounterL], 0x0              // counterL<=0
s_cbranch_scc0 TailLoopBeginL_6                    // restart LoopL
TailLoopEndL_7:

SkipTailLoopL_8:

Summation_End_18:
/* endSummation: add vgpr [48...128) to pool */
.set NumFullBlocks, UNDEF
.set WgmRemainder1, UNDEF
.set MagicNumberWgmRemainder1, UNDEF

/* Mapping of Acc register -> C Vgpr register */

/* Multiply MI out register with Alpha -> C Vgpr register */


	;; [unrolled: 1-line block ×3, first 2 shown]
/* not-LocalSplitU: global write indices */

/* computeStoreVgprs */
v_lshrrev_b32 v50, 6, v[vgprSerial]                // v50 = v[vgprSerial] / 64
v_and_b32 v49, 63, v[vgprSerial]                   // v49 = v[vgprSerial] % 64
v_lshrrev_b32 v49, 4, v49                          // v49 = v49 / 16
v_lshlrev_b32 v49, 0x2, v49                        // thread0 * continuous_output
v_lshrrev_b32 v51, 2, v50                          // v51 = v50 / 4
v_mul_lo_u32 v51, 0x10, v51                        // wave coordination offset 1
_v_add_lshl_u32 v49, v51, v49, 0                   // coordination 1 = vwb *(wave_id1 + tid1)
v_and_b32 v51, 3, v50                              // v51 = v50 % 4
v_mul_lo_u32 v51, 0x10, v51                        // wave coordination offset 0
v_and_b32 v48, 15, v[vgprSerial]                   // v48 = v[vgprSerial] % 16
_v_add_lshl_u32 v48, v51, v48, 0                   // coordination 0 = vwa *(wave_id0 + tid0)
s_mul_i32 s0, 128, s[sgprWorkGroup0]               // wgp0 * MT0
_v_add_u32 v48, s0, v48                            // coord 0 = (tid0/MI_m)*4 + waveG0*MIB_m + MT0*SG0
s_mul_i32 s0, 96, s[sgprWorkGroup1]                // wgp1 * MT1
_v_add_u32 v49, s0, v49                            // coord 1 = (tid0%MI_m) + waveG1*MIB_n + MT1*SG1
v_mov_b32 v50, s[sgprAddressD+0]                   // sgpr -> vgpr
v_mov_b32 v51, s[sgprAddressD+1]                   // sgpr -> vgpr
v_mov_b32 v52, s[sgprAddressC+0]                   // sgpr -> vgpr
v_mov_b32 v53, s[sgprAddressC+1]                   // sgpr -> vgpr


/* not-LocalSplitU: global write */

s_cmpk_eq_u32 s[sgprBeta], 0x0                     // Beta == 0
s_cbranch_scc0 GW_Beta_33                          // Branch if Beta is not zero

s_and_b32 s36, 127, s[sgprSizeI]                   // s36 = s[sgprSizeI] % 128
s_add_u32 s37, -0x1, s[sgprNumWorkGroups0]         // 
s_cmp_ge_u32 s[sgprWorkGroup0], s37                // wg0 >= nwg0-1 ?
s_cselect_b32 s36, s36, 0                          // set rMT0
s_cmpk_gt_u32 s36, 0x0                             // rMT0 > 0
s_cbranch_scc1 GW_B0_E1_24                         // jump if edges required
s_mov_b32 s39, 0x0                                 // STATIC_DIV: divisior=96
s_mul_i32 s38, 0x555, s[sgprSizeJ]                 // tmp1 = dividend * magic hi
s_lshl_b64 s[38:39], s[38:39], 0x10                // left shift 16 bits
s_mul_i32 s37, s[sgprSizeJ], 0x5556                // tmp0 = dividend * magic lo
s_add_u32 s38, s37, s38                            // add lo
s_addc_u32 s39, s39, 0x0                           // add hi
s_lshr_b64 s[38:39], s[38:39], 0x21                // tmp1 = (dividend * magic) << shift
s_mov_b32 s37, s38                                 // quotient
s_mul_i32 s38, s37, 0x60                           // quotient*divisor
s_sub_u32 s36, s[sgprSizeJ], s38                   // rReg = dividend - quotient*divisor
s_add_u32 s37, -0x1, s[sgprNumWorkGroups1]         // 
s_cmp_ge_u32 s[sgprWorkGroup1], s37                // wg1 >= nwg1-1
s_cselect_b32 s36, s36, 0                          // set rMT1
s_cmpk_gt_u32 s36, 0x0                             // rMT1 > 0
s_cbranch_scc1 GW_B0_E1_24                         // jump if edges required
GW_B0_E0_21:

/* edge=0, allocate 66 sgpr. perBatchTmpS=4 perBatchMaskS=0 perElementMaskS=2 elementsPerBatch=31 */
/* optSingleColVgpr=0 optSharedColVgpr=0 optSGPRUsage=None optSrdIncForRow=0 */

/******************************************/
/* Global Write Alpha Batch #0 (d1,d0,vc1,vc0) = */
/*    (0,0,0,0:vw1); (0,1,0,0:vw1); (0,0,1,0:vw1); (0,1,1,0:vw1); (0,0,2,0:vw1); (0,1,2,0:vw1); (0,0,3,0:vw1); (0,1,3,0:vw1); (1,0,0,0:vw1); (1,1,0,0:vw1); (1,0,1,0:vw1); (1,1,1,0:vw1); (1,0,2,0:vw1); (1,1,2,0:vw1); (1,0,3,0:vw1); (1,1,3,0:vw1); (2,0,0,0:vw1); (2,1,0,0:vw1); (2,0,1,0:vw1); (2,1,1,0:vw1); (2,0,2,0:vw1); (2,1,2,0:vw1); (2,0,3,0:vw1); (2,1,3,0:vw1); (3,0,0,0:vw1); (3,1,0,0:vw1); (3,0,1,0:vw1); (3,1,1,0:vw1); (3,0,2,0:vw1); (3,1,2,0:vw1); (3,0,3,0:vw1) */
/******************************************/

/* calc coords, apply mask, and issue loads (if necessary) */
/* (d1,vc1,d0,vc0)=(0,0,0,0) */
GLOBAL_OFFSET_D 60, 48, 49, sgprWorkGroup2, 56
v_mov_b32 v56, v60                                 // temp store offset 0
v_mov_b32 v57, v61                                 // temp store offset 1
_v_add_co_u32 v60, vcc, v50, v56                   // addrVgpr = D + index*bytes (lo)
_v_addc_co_u32 v61, vcc, v51, v57, vcc             // addrVgpr = D + index*bytes (hi)
/* (d1,vc1,d0,vc0)=(0,0,1,0) */
_v_add_co_u32 v54, vcc, v48, 64                    // coord0.1: coord0 += d0*sg0*VW + vc0
GLOBAL_OFFSET_D 62, 54, 49, sgprWorkGroup2, 56
v_mov_b32 v56, v62                                 // temp store offset 0
v_mov_b32 v57, v63                                 // temp store offset 1
_v_add_co_u32 v62, vcc, v50, v56                   // addrVgpr = D + index*bytes (lo)
_v_addc_co_u32 v63, vcc, v51, v57, vcc             // addrVgpr = D + index*bytes (hi)
/* (d1,vc1,d0,vc0)=(0,1,0,0) */
_v_add_co_u32 v49, vcc, v49, 1                     // coord1.1: coord1Vgpr += d1*sg1*VW + vc1
GLOBAL_OFFSET_D 66, 48, 49, sgprWorkGroup2, 56
v_mov_b32 v56, v66                                 // temp store offset 0
v_mov_b32 v57, v67                                 // temp store offset 1
_v_add_co_u32 v66, vcc, v50, v56                   // addrVgpr = D + index*bytes (lo)
_v_addc_co_u32 v67, vcc, v51, v57, vcc             // addrVgpr = D + index*bytes (hi)
/* (d1,vc1,d0,vc0)=(0,1,1,0) */
_v_add_co_u32 v54, vcc, v48, 64                    // coord0.1: coord0 += d0*sg0*VW + vc0
GLOBAL_OFFSET_D 68, 54, 49, sgprWorkGroup2, 56
v_mov_b32 v56, v68                                 // temp store offset 0
v_mov_b32 v57, v69                                 // temp store offset 1
_v_add_co_u32 v68, vcc, v50, v56                   // addrVgpr = D + index*bytes (lo)
_v_addc_co_u32 v69, vcc, v51, v57, vcc             // addrVgpr = D + index*bytes (hi)
/* (d1,vc1,d0,vc0)=(0,2,0,0) */
_v_add_co_u32 v49, vcc, v49, 1                     // coord1.1: coord1Vgpr += d1*sg1*VW + vc1
	;; [unrolled: 14-line block ×3, first 2 shown]
GLOBAL_OFFSET_D 78, 48, 49, sgprWorkGroup2, 56
v_mov_b32 v56, v78                                 // temp store offset 0
v_mov_b32 v57, v79                                 // temp store offset 1
_v_add_co_u32 v78, vcc, v50, v56                   // addrVgpr = D + index*bytes (lo)
_v_addc_co_u32 v79, vcc, v51, v57, vcc             // addrVgpr = D + index*bytes (hi)
/* (d1,vc1,d0,vc0)=(0,3,1,0) */
_v_add_co_u32 v54, vcc, v48, 64                    // coord0.1: coord0 += d0*sg0*VW + vc0
GLOBAL_OFFSET_D 80, 54, 49, sgprWorkGroup2, 56
v_mov_b32 v56, v80                                 // temp store offset 0
v_mov_b32 v57, v81                                 // temp store offset 1
_v_add_co_u32 v80, vcc, v50, v56                   // addrVgpr = D + index*bytes (lo)
_v_addc_co_u32 v81, vcc, v51, v57, vcc             // addrVgpr = D + index*bytes (hi)
/* (d1,vc1,d0,vc0)=(1,0,0,0) */
_v_add_co_u32 v49, vcc, v49, 13                    // coord1.1: coord1Vgpr += d1*sg1*VW + vc1
GLOBAL_OFFSET_D 84, 48, 49, sgprWorkGroup2, 56
v_mov_b32 v56, v84                                 // temp store offset 0
v_mov_b32 v57, v85                                 // temp store offset 1
_v_add_co_u32 v84, vcc, v50, v56                   // addrVgpr = D + index*bytes (lo)
_v_addc_co_u32 v85, vcc, v51, v57, vcc             // addrVgpr = D + index*bytes (hi)
/* (d1,vc1,d0,vc0)=(1,0,1,0) */
_v_add_co_u32 v54, vcc, v48, 64                    // coord0.1: coord0 += d0*sg0*VW + vc0
GLOBAL_OFFSET_D 86, 54, 49, sgprWorkGroup2, 56
v_mov_b32 v56, v86                                 // temp store offset 0
v_mov_b32 v57, v87                                 // temp store offset 1
_v_add_co_u32 v86, vcc, v50, v56                   // addrVgpr = D + index*bytes (lo)
_v_addc_co_u32 v87, vcc, v51, v57, vcc             // addrVgpr = D + index*bytes (hi)
/* (d1,vc1,d0,vc0)=(1,1,0,0) */
_v_add_co_u32 v49, vcc, v49, 1                     // coord1.1: coord1Vgpr += d1*sg1*VW + vc1
GLOBAL_OFFSET_D 90, 48, 49, sgprWorkGroup2, 56
v_mov_b32 v56, v90                                 // temp store offset 0
v_mov_b32 v57, v91                                 // temp store offset 1
_v_add_co_u32 v90, vcc, v50, v56                   // addrVgpr = D + index*bytes (lo)
_v_addc_co_u32 v91, vcc, v51, v57, vcc             // addrVgpr = D + index*bytes (hi)
/* (d1,vc1,d0,vc0)=(1,1,1,0) */
_v_add_co_u32 v54, vcc, v48, 64                    // coord0.1: coord0 += d0*sg0*VW + vc0
GLOBAL_OFFSET_D 92, 54, 49, sgprWorkGroup2, 56
v_mov_b32 v56, v92                                 // temp store offset 0
v_mov_b32 v57, v93                                 // temp store offset 1
_v_add_co_u32 v92, vcc, v50, v56                   // addrVgpr = D + index*bytes (lo)
_v_addc_co_u32 v93, vcc, v51, v57, vcc             // addrVgpr = D + index*bytes (hi)
/* (d1,vc1,d0,vc0)=(1,2,0,0) */
_v_add_co_u32 v49, vcc, v49, 1                     // coord1.1: coord1Vgpr += d1*sg1*VW + vc1
GLOBAL_OFFSET_D 96, 48, 49, sgprWorkGroup2, 56
v_mov_b32 v56, v96                                 // temp store offset 0
v_mov_b32 v57, v97                                 // temp store offset 1
_v_add_co_u32 v96, vcc, v50, v56                   // addrVgpr = D + index*bytes (lo)
_v_addc_co_u32 v97, vcc, v51, v57, vcc             // addrVgpr = D + index*bytes (hi)
/* (d1,vc1,d0,vc0)=(1,2,1,0) */
_v_add_co_u32 v54, vcc, v48, 64                    // coord0.1: coord0 += d0*sg0*VW + vc0
GLOBAL_OFFSET_D 98, 54, 49, sgprWorkGroup2, 56
v_mov_b32 v56, v98                                 // temp store offset 0
v_mov_b32 v57, v99                                 // temp store offset 1
_v_add_co_u32 v98, vcc, v50, v56                   // addrVgpr = D + index*bytes (lo)
_v_addc_co_u32 v99, vcc, v51, v57, vcc             // addrVgpr = D + index*bytes (hi)
/* (d1,vc1,d0,vc0)=(1,3,0,0) */
_v_add_co_u32 v49, vcc, v49, 1                     // coord1.1: coord1Vgpr += d1*sg1*VW + vc1
GLOBAL_OFFSET_D 102, 48, 49, sgprWorkGroup2, 56
v_mov_b32 v56, v102                                // temp store offset 0
v_mov_b32 v57, v103                                // temp store offset 1
_v_add_co_u32 v102, vcc, v50, v56                  // addrVgpr = D + index*bytes (lo)
_v_addc_co_u32 v103, vcc, v51, v57, vcc            // addrVgpr = D + index*bytes (hi)
/* (d1,vc1,d0,vc0)=(1,3,1,0) */
_v_add_co_u32 v54, vcc, v48, 64                    // coord0.1: coord0 += d0*sg0*VW + vc0
GLOBAL_OFFSET_D 104, 54, 49, sgprWorkGroup2, 56
v_mov_b32 v56, v104                                // temp store offset 0
v_mov_b32 v57, v105                                // temp store offset 1
_v_add_co_u32 v104, vcc, v50, v56                  // addrVgpr = D + index*bytes (lo)
_v_addc_co_u32 v105, vcc, v51, v57, vcc            // addrVgpr = D + index*bytes (hi)
/* (d1,vc1,d0,vc0)=(2,0,0,0) */
_v_add_co_u32 v49, vcc, v49, 13                    // coord1.1: coord1Vgpr += d1*sg1*VW + vc1
GLOBAL_OFFSET_D 108, 48, 49, sgprWorkGroup2, 56
v_mov_b32 v56, v108                                // temp store offset 0
v_mov_b32 v57, v109                                // temp store offset 1
_v_add_co_u32 v108, vcc, v50, v56                  // addrVgpr = D + index*bytes (lo)
_v_addc_co_u32 v109, vcc, v51, v57, vcc            // addrVgpr = D + index*bytes (hi)
/* (d1,vc1,d0,vc0)=(2,0,1,0) */
_v_add_co_u32 v54, vcc, v48, 64                    // coord0.1: coord0 += d0*sg0*VW + vc0
GLOBAL_OFFSET_D 110, 54, 49, sgprWorkGroup2, 56
v_mov_b32 v56, v110                                // temp store offset 0
v_mov_b32 v57, v111                                // temp store offset 1
_v_add_co_u32 v110, vcc, v50, v56                  // addrVgpr = D + index*bytes (lo)
_v_addc_co_u32 v111, vcc, v51, v57, vcc            // addrVgpr = D + index*bytes (hi)
/* (d1,vc1,d0,vc0)=(2,1,0,0) */
_v_add_co_u32 v49, vcc, v49, 1                     // coord1.1: coord1Vgpr += d1*sg1*VW + vc1
GLOBAL_OFFSET_D 114, 48, 49, sgprWorkGroup2, 56
v_mov_b32 v56, v114                                // temp store offset 0
v_mov_b32 v57, v115                                // temp store offset 1
_v_add_co_u32 v114, vcc, v50, v56                  // addrVgpr = D + index*bytes (lo)
_v_addc_co_u32 v115, vcc, v51, v57, vcc            // addrVgpr = D + index*bytes (hi)
/* (d1,vc1,d0,vc0)=(2,1,1,0) */
_v_add_co_u32 v54, vcc, v48, 64                    // coord0.1: coord0 += d0*sg0*VW + vc0
GLOBAL_OFFSET_D 116, 54, 49, sgprWorkGroup2, 56
v_mov_b32 v56, v116                                // temp store offset 0
v_mov_b32 v57, v117                                // temp store offset 1
_v_add_co_u32 v116, vcc, v50, v56                  // addrVgpr = D + index*bytes (lo)
_v_addc_co_u32 v117, vcc, v51, v57, vcc            // addrVgpr = D + index*bytes (hi)
/* (d1,vc1,d0,vc0)=(2,2,0,0) */
_v_add_co_u32 v49, vcc, v49, 1                     // coord1.1: coord1Vgpr += d1*sg1*VW + vc1
	;; [unrolled: 14-line block ×3, first 2 shown]
GLOBAL_OFFSET_D 126, 48, 49, sgprWorkGroup2, 56
v_mov_b32 v56, v126                                // temp store offset 0
v_mov_b32 v57, v127                                // temp store offset 1
_v_add_co_u32 v126, vcc, v50, v56                  // addrVgpr = D + index*bytes (lo)
_v_addc_co_u32 v127, vcc, v51, v57, vcc            // addrVgpr = D + index*bytes (hi)
/* (d1,vc1,d0,vc0)=(2,3,1,0) */
_v_add_co_u32 v54, vcc, v48, 64                    // coord0.1: coord0 += d0*sg0*VW + vc0
GLOBAL_OFFSET_D 132, 54, 49, sgprWorkGroup2, 56
v_mov_b32 v56, v132                                // temp store offset 0
v_mov_b32 v57, v133                                // temp store offset 1
_v_add_co_u32 v132, vcc, v50, v56                  // addrVgpr = D + index*bytes (lo)
_v_addc_co_u32 v133, vcc, v51, v57, vcc            // addrVgpr = D + index*bytes (hi)
/* (d1,vc1,d0,vc0)=(3,0,0,0) */
_v_add_co_u32 v49, vcc, v49, 13                    // coord1.1: coord1Vgpr += d1*sg1*VW + vc1
GLOBAL_OFFSET_D 134, 48, 49, sgprWorkGroup2, 56
v_mov_b32 v56, v134                                // temp store offset 0
v_mov_b32 v57, v135                                // temp store offset 1
_v_add_co_u32 v134, vcc, v50, v56                  // addrVgpr = D + index*bytes (lo)
_v_addc_co_u32 v135, vcc, v51, v57, vcc            // addrVgpr = D + index*bytes (hi)
/* (d1,vc1,d0,vc0)=(3,0,1,0) */
_v_add_co_u32 v54, vcc, v48, 64                    // coord0.1: coord0 += d0*sg0*VW + vc0
GLOBAL_OFFSET_D 138, 54, 49, sgprWorkGroup2, 56
v_mov_b32 v56, v138                                // temp store offset 0
v_mov_b32 v57, v139                                // temp store offset 1
_v_add_co_u32 v138, vcc, v50, v56                  // addrVgpr = D + index*bytes (lo)
_v_addc_co_u32 v139, vcc, v51, v57, vcc            // addrVgpr = D + index*bytes (hi)
/* (d1,vc1,d0,vc0)=(3,1,0,0) */
_v_add_co_u32 v49, vcc, v49, 1                     // coord1.1: coord1Vgpr += d1*sg1*VW + vc1
GLOBAL_OFFSET_D 140, 48, 49, sgprWorkGroup2, 56
v_mov_b32 v56, v140                                // temp store offset 0
v_mov_b32 v57, v141                                // temp store offset 1
_v_add_co_u32 v140, vcc, v50, v56                  // addrVgpr = D + index*bytes (lo)
_v_addc_co_u32 v141, vcc, v51, v57, vcc            // addrVgpr = D + index*bytes (hi)
/* (d1,vc1,d0,vc0)=(3,1,1,0) */
_v_add_co_u32 v54, vcc, v48, 64                    // coord0.1: coord0 += d0*sg0*VW + vc0
GLOBAL_OFFSET_D 144, 54, 49, sgprWorkGroup2, 56
v_mov_b32 v56, v144                                // temp store offset 0
v_mov_b32 v57, v145                                // temp store offset 1
_v_add_co_u32 v144, vcc, v50, v56                  // addrVgpr = D + index*bytes (lo)
_v_addc_co_u32 v145, vcc, v51, v57, vcc            // addrVgpr = D + index*bytes (hi)
/* (d1,vc1,d0,vc0)=(3,2,0,0) */
_v_add_co_u32 v49, vcc, v49, 1                     // coord1.1: coord1Vgpr += d1*sg1*VW + vc1
	;; [unrolled: 14-line block ×3, first 2 shown]
GLOBAL_OFFSET_D 152, 48, 49, sgprWorkGroup2, 56
v_mov_b32 v56, v152                                // temp store offset 0
v_mov_b32 v57, v153                                // temp store offset 1
_v_add_co_u32 v152, vcc, v50, v56                  // addrVgpr = D + index*bytes (lo)
_v_addc_co_u32 v153, vcc, v51, v57, vcc            // addrVgpr = D + index*bytes (hi)

/* rC *= alpha batchElements=[(0, 0, 0, 0), (0, 1, 0, 0), (0, 0, 1, 0), (0, 1, 1, 0), (0, 0, 2, 0), (0, 1, 2, 0), (0, 0, 3, 0), (0, 1, 3, 0), (1, 0, 0, 0), (1, 1, 0, 0), (1, 0, 1, 0), (1, 1, 1, 0), (1, 0, 2, 0), (1, 1, 2, 0), (1, 0, 3, 0), (1, 1, 3, 0), (2, 0, 0, 0), (2, 1, 0, 0), (2, 0, 1, 0), (2, 1, 1, 0), (2, 0, 2, 0), (2, 1, 2, 0), (2, 0, 3, 0), (2, 1, 3, 0), (3, 0, 0, 0), (3, 1, 0, 0), (3, 0, 1, 0), (3, 1, 1, 0), (3, 0, 2, 0), (3, 1, 2, 0), (3, 0, 3, 0)] */
v_mul_f32 v[vgprValuC+59], s[sgprAlpha], v[vgprValuC+0] // Multiply MI out reg with alpha
v_mul_f32 v[vgprValuC+64], s[sgprAlpha], v[vgprValuC+4] // Multiply MI out reg with alpha
	;; [unrolled: 1-line block ×31, first 2 shown]

/* apply mask, calc new C and issue writes */
_global_store_b32 v[60:61], v59, off               // store D
_global_store_b32 v[62:63], v64, off               // store D
	;; [unrolled: 1-line block ×13, first 2 shown]
_global_store_b32 v[98:99], v100, off              // store D
_global_store_b32 v[102:103], v101, off            // store D
_global_store_b32 v[104:105], v106, off            // store D
_global_store_b32 v[108:109], v107, off            // store D
_global_store_b32 v[110:111], v112, off            // store D
_global_store_b32 v[114:115], v113, off            // store D
_global_store_b32 v[116:117], v118, off            // store D
_global_store_b32 v[120:121], v119, off            // store D
_global_store_b32 v[122:123], v124, off            // store D
_global_store_b32 v[126:127], v125, off            // store D
_global_store_b32 v[132:133], v131, off            // store D
_global_store_b32 v[134:135], v136, off            // store D
_global_store_b32 v[138:139], v137, off            // store D
_global_store_b32 v[140:141], v142, off            // store D
_global_store_b32 v[144:145], v143, off            // store D
_global_store_b32 v[146:147], v148, off            // store D
_global_store_b32 v[150:151], v149, off            // store D
_global_store_b32 v[152:153], v154, off            // store D
s_nop 0                                            // 1 wait state required when next inst writes vgprs held by previous dwordx4 store inst
/* optSingleColVgpr=0 optSharedColVgpr=0 optSGPRUsage=None optSrdIncForRow=0 */

/******************************************/
/* Global Write Alpha Batch #1 (d1,d0,vc1,vc0) = */
/*    (3,1,3,0:vw1); (4,0,0,0:vw1); (4,1,0,0:vw1); (4,0,1,0:vw1); (4,1,1,0:vw1); (4,0,2,0:vw1); (4,1,2,0:vw1); (4,0,3,0:vw1); (4,1,3,0:vw1); (5,0,0,0:vw1); (5,1,0,0:vw1); (5,0,1,0:vw1); (5,1,1,0:vw1); (5,0,2,0:vw1); (5,1,2,0:vw1); (5,0,3,0:vw1); (5,1,3,0:vw1) */
/******************************************/

/* calc coords, apply mask, and issue loads (if necessary) */
/* (d1,vc1,d0,vc0)=(3,3,1,0) */
_v_add_co_u32 v54, vcc, v48, 64                    // coord0.1: coord0 += d0*sg0*VW + vc0
GLOBAL_OFFSET_D 60, 54, 49, sgprWorkGroup2, 56
v_mov_b32 v56, v60                                 // temp store offset 0
v_mov_b32 v57, v61                                 // temp store offset 1
_v_add_co_u32 v60, vcc, v50, v56                   // addrVgpr = D + index*bytes (lo)
_v_addc_co_u32 v61, vcc, v51, v57, vcc             // addrVgpr = D + index*bytes (hi)
/* (d1,vc1,d0,vc0)=(4,0,0,0) */
_v_add_co_u32 v49, vcc, v49, 13                    // coord1.1: coord1Vgpr += d1*sg1*VW + vc1
GLOBAL_OFFSET_D 62, 48, 49, sgprWorkGroup2, 56
v_mov_b32 v56, v62                                 // temp store offset 0
v_mov_b32 v57, v63                                 // temp store offset 1
_v_add_co_u32 v62, vcc, v50, v56                   // addrVgpr = D + index*bytes (lo)
_v_addc_co_u32 v63, vcc, v51, v57, vcc             // addrVgpr = D + index*bytes (hi)
/* (d1,vc1,d0,vc0)=(4,0,1,0) */
_v_add_co_u32 v54, vcc, v48, 64                    // coord0.1: coord0 += d0*sg0*VW + vc0
GLOBAL_OFFSET_D 66, 54, 49, sgprWorkGroup2, 56
v_mov_b32 v56, v66                                 // temp store offset 0
v_mov_b32 v57, v67                                 // temp store offset 1
_v_add_co_u32 v66, vcc, v50, v56                   // addrVgpr = D + index*bytes (lo)
_v_addc_co_u32 v67, vcc, v51, v57, vcc             // addrVgpr = D + index*bytes (hi)
/* (d1,vc1,d0,vc0)=(4,1,0,0) */
_v_add_co_u32 v49, vcc, v49, 1                     // coord1.1: coord1Vgpr += d1*sg1*VW + vc1
GLOBAL_OFFSET_D 68, 48, 49, sgprWorkGroup2, 56
v_mov_b32 v56, v68                                 // temp store offset 0
v_mov_b32 v57, v69                                 // temp store offset 1
_v_add_co_u32 v68, vcc, v50, v56                   // addrVgpr = D + index*bytes (lo)
_v_addc_co_u32 v69, vcc, v51, v57, vcc             // addrVgpr = D + index*bytes (hi)
/* (d1,vc1,d0,vc0)=(4,1,1,0) */
_v_add_co_u32 v54, vcc, v48, 64                    // coord0.1: coord0 += d0*sg0*VW + vc0
GLOBAL_OFFSET_D 72, 54, 49, sgprWorkGroup2, 56
v_mov_b32 v56, v72                                 // temp store offset 0
v_mov_b32 v57, v73                                 // temp store offset 1
_v_add_co_u32 v72, vcc, v50, v56                   // addrVgpr = D + index*bytes (lo)
_v_addc_co_u32 v73, vcc, v51, v57, vcc             // addrVgpr = D + index*bytes (hi)
/* (d1,vc1,d0,vc0)=(4,2,0,0) */
_v_add_co_u32 v49, vcc, v49, 1                     // coord1.1: coord1Vgpr += d1*sg1*VW + vc1
	;; [unrolled: 14-line block ×3, first 2 shown]
GLOBAL_OFFSET_D 80, 48, 49, sgprWorkGroup2, 56
v_mov_b32 v56, v80                                 // temp store offset 0
v_mov_b32 v57, v81                                 // temp store offset 1
_v_add_co_u32 v80, vcc, v50, v56                   // addrVgpr = D + index*bytes (lo)
_v_addc_co_u32 v81, vcc, v51, v57, vcc             // addrVgpr = D + index*bytes (hi)
/* (d1,vc1,d0,vc0)=(4,3,1,0) */
_v_add_co_u32 v54, vcc, v48, 64                    // coord0.1: coord0 += d0*sg0*VW + vc0
GLOBAL_OFFSET_D 84, 54, 49, sgprWorkGroup2, 56
v_mov_b32 v56, v84                                 // temp store offset 0
v_mov_b32 v57, v85                                 // temp store offset 1
_v_add_co_u32 v84, vcc, v50, v56                   // addrVgpr = D + index*bytes (lo)
_v_addc_co_u32 v85, vcc, v51, v57, vcc             // addrVgpr = D + index*bytes (hi)
/* (d1,vc1,d0,vc0)=(5,0,0,0) */
_v_add_co_u32 v49, vcc, v49, 13                    // coord1.1: coord1Vgpr += d1*sg1*VW + vc1
GLOBAL_OFFSET_D 86, 48, 49, sgprWorkGroup2, 56
v_mov_b32 v56, v86                                 // temp store offset 0
v_mov_b32 v57, v87                                 // temp store offset 1
_v_add_co_u32 v86, vcc, v50, v56                   // addrVgpr = D + index*bytes (lo)
_v_addc_co_u32 v87, vcc, v51, v57, vcc             // addrVgpr = D + index*bytes (hi)
/* (d1,vc1,d0,vc0)=(5,0,1,0) */
_v_add_co_u32 v54, vcc, v48, 64                    // coord0.1: coord0 += d0*sg0*VW + vc0
GLOBAL_OFFSET_D 90, 54, 49, sgprWorkGroup2, 56
v_mov_b32 v56, v90                                 // temp store offset 0
v_mov_b32 v57, v91                                 // temp store offset 1
_v_add_co_u32 v90, vcc, v50, v56                   // addrVgpr = D + index*bytes (lo)
_v_addc_co_u32 v91, vcc, v51, v57, vcc             // addrVgpr = D + index*bytes (hi)
/* (d1,vc1,d0,vc0)=(5,1,0,0) */
_v_add_co_u32 v49, vcc, v49, 1                     // coord1.1: coord1Vgpr += d1*sg1*VW + vc1
GLOBAL_OFFSET_D 92, 48, 49, sgprWorkGroup2, 56
v_mov_b32 v56, v92                                 // temp store offset 0
v_mov_b32 v57, v93                                 // temp store offset 1
_v_add_co_u32 v92, vcc, v50, v56                   // addrVgpr = D + index*bytes (lo)
_v_addc_co_u32 v93, vcc, v51, v57, vcc             // addrVgpr = D + index*bytes (hi)
/* (d1,vc1,d0,vc0)=(5,1,1,0) */
_v_add_co_u32 v54, vcc, v48, 64                    // coord0.1: coord0 += d0*sg0*VW + vc0
GLOBAL_OFFSET_D 96, 54, 49, sgprWorkGroup2, 56
v_mov_b32 v56, v96                                 // temp store offset 0
v_mov_b32 v57, v97                                 // temp store offset 1
_v_add_co_u32 v96, vcc, v50, v56                   // addrVgpr = D + index*bytes (lo)
_v_addc_co_u32 v97, vcc, v51, v57, vcc             // addrVgpr = D + index*bytes (hi)
/* (d1,vc1,d0,vc0)=(5,2,0,0) */
_v_add_co_u32 v49, vcc, v49, 1                     // coord1.1: coord1Vgpr += d1*sg1*VW + vc1
GLOBAL_OFFSET_D 98, 48, 49, sgprWorkGroup2, 56
v_mov_b32 v56, v98                                 // temp store offset 0
v_mov_b32 v57, v99                                 // temp store offset 1
_v_add_co_u32 v98, vcc, v50, v56                   // addrVgpr = D + index*bytes (lo)
_v_addc_co_u32 v99, vcc, v51, v57, vcc             // addrVgpr = D + index*bytes (hi)
/* (d1,vc1,d0,vc0)=(5,2,1,0) */
_v_add_co_u32 v54, vcc, v48, 64                    // coord0.1: coord0 += d0*sg0*VW + vc0
GLOBAL_OFFSET_D 102, 54, 49, sgprWorkGroup2, 56
v_mov_b32 v56, v102                                // temp store offset 0
v_mov_b32 v57, v103                                // temp store offset 1
_v_add_co_u32 v102, vcc, v50, v56                  // addrVgpr = D + index*bytes (lo)
_v_addc_co_u32 v103, vcc, v51, v57, vcc            // addrVgpr = D + index*bytes (hi)
/* (d1,vc1,d0,vc0)=(5,3,0,0) */
_v_add_co_u32 v49, vcc, v49, 1                     // coord1.1: coord1Vgpr += d1*sg1*VW + vc1
GLOBAL_OFFSET_D 104, 48, 49, sgprWorkGroup2, 56
v_mov_b32 v56, v104                                // temp store offset 0
v_mov_b32 v57, v105                                // temp store offset 1
_v_add_co_u32 v104, vcc, v50, v56                  // addrVgpr = D + index*bytes (lo)
_v_addc_co_u32 v105, vcc, v51, v57, vcc            // addrVgpr = D + index*bytes (hi)
/* (d1,vc1,d0,vc0)=(5,3,1,0) */
_v_add_co_u32 v54, vcc, v48, 64                    // coord0.1: coord0 += d0*sg0*VW + vc0
GLOBAL_OFFSET_D 108, 54, 49, sgprWorkGroup2, 56
v_mov_b32 v56, v108                                // temp store offset 0
v_mov_b32 v57, v109                                // temp store offset 1
_v_add_co_u32 v108, vcc, v50, v56                  // addrVgpr = D + index*bytes (lo)
_v_addc_co_u32 v109, vcc, v51, v57, vcc            // addrVgpr = D + index*bytes (hi)

/* rC *= alpha batchElements=[(3, 1, 3, 0), (4, 0, 0, 0), (4, 1, 0, 0), (4, 0, 1, 0), (4, 1, 1, 0), (4, 0, 2, 0), (4, 1, 2, 0), (4, 0, 3, 0), (4, 1, 3, 0), (5, 0, 0, 0), (5, 1, 0, 0), (5, 0, 1, 0), (5, 1, 1, 0), (5, 0, 2, 0), (5, 1, 2, 0), (5, 0, 3, 0), (5, 1, 3, 0)] */
v_mul_f32 v[vgprValuC+59], s[sgprAlpha], v[vgprValuC+31] // Multiply MI out reg with alpha
v_mul_f32 v[vgprValuC+64], s[sgprAlpha], v[vgprValuC+32] // Multiply MI out reg with alpha
	;; [unrolled: 1-line block ×17, first 2 shown]

/* apply mask, calc new C and issue writes */
_global_store_b32 v[60:61], v59, off               // store D
_global_store_b32 v[62:63], v64, off               // store D
	;; [unrolled: 1-line block ×13, first 2 shown]
_global_store_b32 v[98:99], v100, off              // store D
_global_store_b32 v[102:103], v101, off            // store D
_global_store_b32 v[104:105], v106, off            // store D
	;; [unrolled: 1-line block ×3, first 2 shown]
s_nop 0                                            // 1 wait state required when next inst writes vgprs held by previous dwordx4 store inst
s_branch label_GW_End_32                           // jump to end
GW_B0_E1_24:

/* edge=1, allocate 66 sgpr. perBatchTmpS=4 perBatchMaskS=0 perElementMaskS=2 elementsPerBatch=31 */
/* optSingleColVgpr=0 optSharedColVgpr=0 optSGPRUsage=None optSrdIncForRow=0 */

/******************************************/
/* Global Write Alpha Edge Batch #0 (d1,d0,vc1,vc0) = */
/*    (0,0,0,0:vw1); (0,1,0,0:vw1); (0,0,1,0:vw1); (0,1,1,0:vw1); (0,0,2,0:vw1); (0,1,2,0:vw1); (0,0,3,0:vw1); (0,1,3,0:vw1); (1,0,0,0:vw1); (1,1,0,0:vw1); (1,0,1,0:vw1); (1,1,1,0:vw1); (1,0,2,0:vw1); (1,1,2,0:vw1); (1,0,3,0:vw1); (1,1,3,0:vw1); (2,0,0,0:vw1); (2,1,0,0:vw1); (2,0,1,0:vw1); (2,1,1,0:vw1); (2,0,2,0:vw1); (2,1,2,0:vw1); (2,0,3,0:vw1); (2,1,3,0:vw1); (3,0,0,0:vw1); (3,1,0,0:vw1); (3,0,1,0:vw1); (3,1,1,0:vw1); (3,0,2,0:vw1); (3,1,2,0:vw1); (3,0,3,0:vw1) */
/******************************************/

/* calc coords, apply mask, and issue loads (if necessary) */
/* (d1,vc1,d0,vc0)=(0,0,0,0) */
GLOBAL_OFFSET_D 60, 48, 49, sgprWorkGroup2, 56
v_mov_b32 v56, v60                                 // temp store offset 0
v_mov_b32 v57, v61                                 // temp store offset 1
v_cmp_lt_u32 s[36:37], v48, s[sgprSizesFree+0]     // coord0 < size0
v_cmp_lt_u32 s[38:39], v49, s[sgprSizesFree+1]     // coord1 < size1
s_and_b64 s[40:41], s[36:37], s[38:39]             // in0 && in1
_v_add_co_u32 v60, vcc, v50, v56                   // addrVgpr = D + index*bytes (lo)
_v_addc_co_u32 v61, vcc, v51, v57, vcc             // addrVgpr = D + index*bytes (hi)
/* (d1,vc1,d0,vc0)=(0,0,1,0) */
_v_add_co_u32 v54, vcc, v48, 64                    // coord0.1: coord0 += d0*sg0*VW + vc0
GLOBAL_OFFSET_D 62, 54, 49, sgprWorkGroup2, 56
v_mov_b32 v56, v62                                 // temp store offset 0
v_mov_b32 v57, v63                                 // temp store offset 1
v_cmp_lt_u32 s[36:37], v54, s[sgprSizesFree+0]     // coord0 < size0
v_cmp_lt_u32 s[38:39], v49, s[sgprSizesFree+1]     // coord1 < size1
s_and_b64 s[42:43], s[36:37], s[38:39]             // in0 && in1
_v_add_co_u32 v62, vcc, v50, v56                   // addrVgpr = D + index*bytes (lo)
_v_addc_co_u32 v63, vcc, v51, v57, vcc             // addrVgpr = D + index*bytes (hi)
/* (d1,vc1,d0,vc0)=(0,1,0,0) */
_v_add_co_u32 v49, vcc, v49, 1                     // coord1.1: coord1Vgpr += d1*sg1*VW + vc1
GLOBAL_OFFSET_D 66, 48, 49, sgprWorkGroup2, 56
v_mov_b32 v56, v66                                 // temp store offset 0
v_mov_b32 v57, v67                                 // temp store offset 1
v_cmp_lt_u32 s[36:37], v48, s[sgprSizesFree+0]     // coord0 < size0
v_cmp_lt_u32 s[38:39], v49, s[sgprSizesFree+1]     // coord1 < size1
s_and_b64 s[44:45], s[36:37], s[38:39]             // in0 && in1
_v_add_co_u32 v66, vcc, v50, v56                   // addrVgpr = D + index*bytes (lo)
_v_addc_co_u32 v67, vcc, v51, v57, vcc             // addrVgpr = D + index*bytes (hi)
/* (d1,vc1,d0,vc0)=(0,1,1,0) */
_v_add_co_u32 v54, vcc, v48, 64                    // coord0.1: coord0 += d0*sg0*VW + vc0
GLOBAL_OFFSET_D 68, 54, 49, sgprWorkGroup2, 56
v_mov_b32 v56, v68                                 // temp store offset 0
v_mov_b32 v57, v69                                 // temp store offset 1
v_cmp_lt_u32 s[36:37], v54, s[sgprSizesFree+0]     // coord0 < size0
v_cmp_lt_u32 s[38:39], v49, s[sgprSizesFree+1]     // coord1 < size1
s_and_b64 s[46:47], s[36:37], s[38:39]             // in0 && in1
_v_add_co_u32 v68, vcc, v50, v56                   // addrVgpr = D + index*bytes (lo)
_v_addc_co_u32 v69, vcc, v51, v57, vcc             // addrVgpr = D + index*bytes (hi)
/* (d1,vc1,d0,vc0)=(0,2,0,0) */
_v_add_co_u32 v49, vcc, v49, 1                     // coord1.1: coord1Vgpr += d1*sg1*VW + vc1
	;; [unrolled: 20-line block ×3, first 2 shown]
GLOBAL_OFFSET_D 78, 48, 49, sgprWorkGroup2, 56
v_mov_b32 v56, v78                                 // temp store offset 0
v_mov_b32 v57, v79                                 // temp store offset 1
v_cmp_lt_u32 s[36:37], v48, s[sgprSizesFree+0]     // coord0 < size0
v_cmp_lt_u32 s[38:39], v49, s[sgprSizesFree+1]     // coord1 < size1
s_and_b64 s[52:53], s[36:37], s[38:39]             // in0 && in1
_v_add_co_u32 v78, vcc, v50, v56                   // addrVgpr = D + index*bytes (lo)
_v_addc_co_u32 v79, vcc, v51, v57, vcc             // addrVgpr = D + index*bytes (hi)
/* (d1,vc1,d0,vc0)=(0,3,1,0) */
_v_add_co_u32 v54, vcc, v48, 64                    // coord0.1: coord0 += d0*sg0*VW + vc0
GLOBAL_OFFSET_D 80, 54, 49, sgprWorkGroup2, 56
v_mov_b32 v56, v80                                 // temp store offset 0
v_mov_b32 v57, v81                                 // temp store offset 1
v_cmp_lt_u32 s[36:37], v54, s[sgprSizesFree+0]     // coord0 < size0
v_cmp_lt_u32 s[38:39], v49, s[sgprSizesFree+1]     // coord1 < size1
s_and_b64 s[54:55], s[36:37], s[38:39]             // in0 && in1
_v_add_co_u32 v80, vcc, v50, v56                   // addrVgpr = D + index*bytes (lo)
_v_addc_co_u32 v81, vcc, v51, v57, vcc             // addrVgpr = D + index*bytes (hi)
/* (d1,vc1,d0,vc0)=(1,0,0,0) */
_v_add_co_u32 v49, vcc, v49, 13                    // coord1.1: coord1Vgpr += d1*sg1*VW + vc1
GLOBAL_OFFSET_D 84, 48, 49, sgprWorkGroup2, 56
v_mov_b32 v56, v84                                 // temp store offset 0
v_mov_b32 v57, v85                                 // temp store offset 1
v_cmp_lt_u32 s[36:37], v48, s[sgprSizesFree+0]     // coord0 < size0
v_cmp_lt_u32 s[38:39], v49, s[sgprSizesFree+1]     // coord1 < size1
s_and_b64 s[56:57], s[36:37], s[38:39]             // in0 && in1
_v_add_co_u32 v84, vcc, v50, v56                   // addrVgpr = D + index*bytes (lo)
_v_addc_co_u32 v85, vcc, v51, v57, vcc             // addrVgpr = D + index*bytes (hi)
/* (d1,vc1,d0,vc0)=(1,0,1,0) */
_v_add_co_u32 v54, vcc, v48, 64                    // coord0.1: coord0 += d0*sg0*VW + vc0
GLOBAL_OFFSET_D 86, 54, 49, sgprWorkGroup2, 56
v_mov_b32 v56, v86                                 // temp store offset 0
v_mov_b32 v57, v87                                 // temp store offset 1
v_cmp_lt_u32 s[36:37], v54, s[sgprSizesFree+0]     // coord0 < size0
v_cmp_lt_u32 s[38:39], v49, s[sgprSizesFree+1]     // coord1 < size1
s_and_b64 s[58:59], s[36:37], s[38:39]             // in0 && in1
_v_add_co_u32 v86, vcc, v50, v56                   // addrVgpr = D + index*bytes (lo)
_v_addc_co_u32 v87, vcc, v51, v57, vcc             // addrVgpr = D + index*bytes (hi)
/* (d1,vc1,d0,vc0)=(1,1,0,0) */
_v_add_co_u32 v49, vcc, v49, 1                     // coord1.1: coord1Vgpr += d1*sg1*VW + vc1
GLOBAL_OFFSET_D 90, 48, 49, sgprWorkGroup2, 56
v_mov_b32 v56, v90                                 // temp store offset 0
v_mov_b32 v57, v91                                 // temp store offset 1
v_cmp_lt_u32 s[36:37], v48, s[sgprSizesFree+0]     // coord0 < size0
v_cmp_lt_u32 s[38:39], v49, s[sgprSizesFree+1]     // coord1 < size1
s_and_b64 s[60:61], s[36:37], s[38:39]             // in0 && in1
_v_add_co_u32 v90, vcc, v50, v56                   // addrVgpr = D + index*bytes (lo)
_v_addc_co_u32 v91, vcc, v51, v57, vcc             // addrVgpr = D + index*bytes (hi)
/* (d1,vc1,d0,vc0)=(1,1,1,0) */
_v_add_co_u32 v54, vcc, v48, 64                    // coord0.1: coord0 += d0*sg0*VW + vc0
GLOBAL_OFFSET_D 92, 54, 49, sgprWorkGroup2, 56
v_mov_b32 v56, v92                                 // temp store offset 0
v_mov_b32 v57, v93                                 // temp store offset 1
v_cmp_lt_u32 s[36:37], v54, s[sgprSizesFree+0]     // coord0 < size0
v_cmp_lt_u32 s[38:39], v49, s[sgprSizesFree+1]     // coord1 < size1
s_and_b64 s[62:63], s[36:37], s[38:39]             // in0 && in1
_v_add_co_u32 v92, vcc, v50, v56                   // addrVgpr = D + index*bytes (lo)
_v_addc_co_u32 v93, vcc, v51, v57, vcc             // addrVgpr = D + index*bytes (hi)
/* (d1,vc1,d0,vc0)=(1,2,0,0) */
_v_add_co_u32 v49, vcc, v49, 1                     // coord1.1: coord1Vgpr += d1*sg1*VW + vc1
	;; [unrolled: 20-line block ×3, first 2 shown]
GLOBAL_OFFSET_D 102, 48, 49, sgprWorkGroup2, 56
v_mov_b32 v56, v102                                // temp store offset 0
v_mov_b32 v57, v103                                // temp store offset 1
v_cmp_lt_u32 s[36:37], v48, s[sgprSizesFree+0]     // coord0 < size0
v_cmp_lt_u32 s[38:39], v49, s[sgprSizesFree+1]     // coord1 < size1
s_and_b64 s[68:69], s[36:37], s[38:39]             // in0 && in1
_v_add_co_u32 v102, vcc, v50, v56                  // addrVgpr = D + index*bytes (lo)
_v_addc_co_u32 v103, vcc, v51, v57, vcc            // addrVgpr = D + index*bytes (hi)
/* (d1,vc1,d0,vc0)=(1,3,1,0) */
_v_add_co_u32 v54, vcc, v48, 64                    // coord0.1: coord0 += d0*sg0*VW + vc0
GLOBAL_OFFSET_D 104, 54, 49, sgprWorkGroup2, 56
v_mov_b32 v56, v104                                // temp store offset 0
v_mov_b32 v57, v105                                // temp store offset 1
v_cmp_lt_u32 s[36:37], v54, s[sgprSizesFree+0]     // coord0 < size0
v_cmp_lt_u32 s[38:39], v49, s[sgprSizesFree+1]     // coord1 < size1
s_and_b64 s[70:71], s[36:37], s[38:39]             // in0 && in1
_v_add_co_u32 v104, vcc, v50, v56                  // addrVgpr = D + index*bytes (lo)
_v_addc_co_u32 v105, vcc, v51, v57, vcc            // addrVgpr = D + index*bytes (hi)
/* (d1,vc1,d0,vc0)=(2,0,0,0) */
_v_add_co_u32 v49, vcc, v49, 13                    // coord1.1: coord1Vgpr += d1*sg1*VW + vc1
GLOBAL_OFFSET_D 108, 48, 49, sgprWorkGroup2, 56
v_mov_b32 v56, v108                                // temp store offset 0
v_mov_b32 v57, v109                                // temp store offset 1
v_cmp_lt_u32 s[36:37], v48, s[sgprSizesFree+0]     // coord0 < size0
v_cmp_lt_u32 s[38:39], v49, s[sgprSizesFree+1]     // coord1 < size1
s_and_b64 s[72:73], s[36:37], s[38:39]             // in0 && in1
_v_add_co_u32 v108, vcc, v50, v56                  // addrVgpr = D + index*bytes (lo)
_v_addc_co_u32 v109, vcc, v51, v57, vcc            // addrVgpr = D + index*bytes (hi)
/* (d1,vc1,d0,vc0)=(2,0,1,0) */
_v_add_co_u32 v54, vcc, v48, 64                    // coord0.1: coord0 += d0*sg0*VW + vc0
GLOBAL_OFFSET_D 110, 54, 49, sgprWorkGroup2, 56
v_mov_b32 v56, v110                                // temp store offset 0
v_mov_b32 v57, v111                                // temp store offset 1
v_cmp_lt_u32 s[36:37], v54, s[sgprSizesFree+0]     // coord0 < size0
v_cmp_lt_u32 s[38:39], v49, s[sgprSizesFree+1]     // coord1 < size1
s_and_b64 s[74:75], s[36:37], s[38:39]             // in0 && in1
_v_add_co_u32 v110, vcc, v50, v56                  // addrVgpr = D + index*bytes (lo)
_v_addc_co_u32 v111, vcc, v51, v57, vcc            // addrVgpr = D + index*bytes (hi)
/* (d1,vc1,d0,vc0)=(2,1,0,0) */
_v_add_co_u32 v49, vcc, v49, 1                     // coord1.1: coord1Vgpr += d1*sg1*VW + vc1
GLOBAL_OFFSET_D 114, 48, 49, sgprWorkGroup2, 56
v_mov_b32 v56, v114                                // temp store offset 0
v_mov_b32 v57, v115                                // temp store offset 1
v_cmp_lt_u32 s[36:37], v48, s[sgprSizesFree+0]     // coord0 < size0
v_cmp_lt_u32 s[38:39], v49, s[sgprSizesFree+1]     // coord1 < size1
s_and_b64 s[76:77], s[36:37], s[38:39]             // in0 && in1
_v_add_co_u32 v114, vcc, v50, v56                  // addrVgpr = D + index*bytes (lo)
_v_addc_co_u32 v115, vcc, v51, v57, vcc            // addrVgpr = D + index*bytes (hi)
/* (d1,vc1,d0,vc0)=(2,1,1,0) */
_v_add_co_u32 v54, vcc, v48, 64                    // coord0.1: coord0 += d0*sg0*VW + vc0
GLOBAL_OFFSET_D 116, 54, 49, sgprWorkGroup2, 56
v_mov_b32 v56, v116                                // temp store offset 0
v_mov_b32 v57, v117                                // temp store offset 1
v_cmp_lt_u32 s[36:37], v54, s[sgprSizesFree+0]     // coord0 < size0
v_cmp_lt_u32 s[38:39], v49, s[sgprSizesFree+1]     // coord1 < size1
s_and_b64 s[78:79], s[36:37], s[38:39]             // in0 && in1
_v_add_co_u32 v116, vcc, v50, v56                  // addrVgpr = D + index*bytes (lo)
_v_addc_co_u32 v117, vcc, v51, v57, vcc            // addrVgpr = D + index*bytes (hi)
/* (d1,vc1,d0,vc0)=(2,2,0,0) */
_v_add_co_u32 v49, vcc, v49, 1                     // coord1.1: coord1Vgpr += d1*sg1*VW + vc1
	;; [unrolled: 20-line block ×3, first 2 shown]
GLOBAL_OFFSET_D 126, 48, 49, sgprWorkGroup2, 56
v_mov_b32 v56, v126                                // temp store offset 0
v_mov_b32 v57, v127                                // temp store offset 1
v_cmp_lt_u32 s[36:37], v48, s[sgprSizesFree+0]     // coord0 < size0
v_cmp_lt_u32 s[38:39], v49, s[sgprSizesFree+1]     // coord1 < size1
s_and_b64 s[84:85], s[36:37], s[38:39]             // in0 && in1
_v_add_co_u32 v126, vcc, v50, v56                  // addrVgpr = D + index*bytes (lo)
_v_addc_co_u32 v127, vcc, v51, v57, vcc            // addrVgpr = D + index*bytes (hi)
/* (d1,vc1,d0,vc0)=(2,3,1,0) */
_v_add_co_u32 v54, vcc, v48, 64                    // coord0.1: coord0 += d0*sg0*VW + vc0
GLOBAL_OFFSET_D 132, 54, 49, sgprWorkGroup2, 56
v_mov_b32 v56, v132                                // temp store offset 0
v_mov_b32 v57, v133                                // temp store offset 1
v_cmp_lt_u32 s[36:37], v54, s[sgprSizesFree+0]     // coord0 < size0
v_cmp_lt_u32 s[38:39], v49, s[sgprSizesFree+1]     // coord1 < size1
s_and_b64 s[86:87], s[36:37], s[38:39]             // in0 && in1
_v_add_co_u32 v132, vcc, v50, v56                  // addrVgpr = D + index*bytes (lo)
_v_addc_co_u32 v133, vcc, v51, v57, vcc            // addrVgpr = D + index*bytes (hi)
/* (d1,vc1,d0,vc0)=(3,0,0,0) */
_v_add_co_u32 v49, vcc, v49, 13                    // coord1.1: coord1Vgpr += d1*sg1*VW + vc1
GLOBAL_OFFSET_D 134, 48, 49, sgprWorkGroup2, 56
v_mov_b32 v56, v134                                // temp store offset 0
v_mov_b32 v57, v135                                // temp store offset 1
v_cmp_lt_u32 s[36:37], v48, s[sgprSizesFree+0]     // coord0 < size0
v_cmp_lt_u32 s[38:39], v49, s[sgprSizesFree+1]     // coord1 < size1
s_and_b64 s[88:89], s[36:37], s[38:39]             // in0 && in1
_v_add_co_u32 v134, vcc, v50, v56                  // addrVgpr = D + index*bytes (lo)
_v_addc_co_u32 v135, vcc, v51, v57, vcc            // addrVgpr = D + index*bytes (hi)
/* (d1,vc1,d0,vc0)=(3,0,1,0) */
_v_add_co_u32 v54, vcc, v48, 64                    // coord0.1: coord0 += d0*sg0*VW + vc0
GLOBAL_OFFSET_D 138, 54, 49, sgprWorkGroup2, 56
v_mov_b32 v56, v138                                // temp store offset 0
v_mov_b32 v57, v139                                // temp store offset 1
v_cmp_lt_u32 s[36:37], v54, s[sgprSizesFree+0]     // coord0 < size0
v_cmp_lt_u32 s[38:39], v49, s[sgprSizesFree+1]     // coord1 < size1
s_and_b64 s[90:91], s[36:37], s[38:39]             // in0 && in1
_v_add_co_u32 v138, vcc, v50, v56                  // addrVgpr = D + index*bytes (lo)
_v_addc_co_u32 v139, vcc, v51, v57, vcc            // addrVgpr = D + index*bytes (hi)
/* (d1,vc1,d0,vc0)=(3,1,0,0) */
_v_add_co_u32 v49, vcc, v49, 1                     // coord1.1: coord1Vgpr += d1*sg1*VW + vc1
GLOBAL_OFFSET_D 140, 48, 49, sgprWorkGroup2, 56
v_mov_b32 v56, v140                                // temp store offset 0
v_mov_b32 v57, v141                                // temp store offset 1
v_cmp_lt_u32 s[36:37], v48, s[sgprSizesFree+0]     // coord0 < size0
v_cmp_lt_u32 s[38:39], v49, s[sgprSizesFree+1]     // coord1 < size1
s_and_b64 s[92:93], s[36:37], s[38:39]             // in0 && in1
_v_add_co_u32 v140, vcc, v50, v56                  // addrVgpr = D + index*bytes (lo)
_v_addc_co_u32 v141, vcc, v51, v57, vcc            // addrVgpr = D + index*bytes (hi)
/* (d1,vc1,d0,vc0)=(3,1,1,0) */
_v_add_co_u32 v54, vcc, v48, 64                    // coord0.1: coord0 += d0*sg0*VW + vc0
GLOBAL_OFFSET_D 144, 54, 49, sgprWorkGroup2, 56
v_mov_b32 v56, v144                                // temp store offset 0
v_mov_b32 v57, v145                                // temp store offset 1
v_cmp_lt_u32 s[36:37], v54, s[sgprSizesFree+0]     // coord0 < size0
v_cmp_lt_u32 s[38:39], v49, s[sgprSizesFree+1]     // coord1 < size1
s_and_b64 s[94:95], s[36:37], s[38:39]             // in0 && in1
_v_add_co_u32 v144, vcc, v50, v56                  // addrVgpr = D + index*bytes (lo)
_v_addc_co_u32 v145, vcc, v51, v57, vcc            // addrVgpr = D + index*bytes (hi)
/* (d1,vc1,d0,vc0)=(3,2,0,0) */
_v_add_co_u32 v49, vcc, v49, 1                     // coord1.1: coord1Vgpr += d1*sg1*VW + vc1
	;; [unrolled: 20-line block ×3, first 2 shown]
GLOBAL_OFFSET_D 152, 48, 49, sgprWorkGroup2, 56
v_mov_b32 v56, v152                                // temp store offset 0
v_mov_b32 v57, v153                                // temp store offset 1
v_cmp_lt_u32 s[36:37], v48, s[sgprSizesFree+0]     // coord0 < size0
v_cmp_lt_u32 s[38:39], v49, s[sgprSizesFree+1]     // coord1 < size1
s_and_b64 s[100:101], s[36:37], s[38:39]           // in0 && in1
_v_add_co_u32 v152, vcc, v50, v56                  // addrVgpr = D + index*bytes (lo)
_v_addc_co_u32 v153, vcc, v51, v57, vcc            // addrVgpr = D + index*bytes (hi)

/* rC *= alpha batchElements=[(0, 0, 0, 0), (0, 1, 0, 0), (0, 0, 1, 0), (0, 1, 1, 0), (0, 0, 2, 0), (0, 1, 2, 0), (0, 0, 3, 0), (0, 1, 3, 0), (1, 0, 0, 0), (1, 1, 0, 0), (1, 0, 1, 0), (1, 1, 1, 0), (1, 0, 2, 0), (1, 1, 2, 0), (1, 0, 3, 0), (1, 1, 3, 0), (2, 0, 0, 0), (2, 1, 0, 0), (2, 0, 1, 0), (2, 1, 1, 0), (2, 0, 2, 0), (2, 1, 2, 0), (2, 0, 3, 0), (2, 1, 3, 0), (3, 0, 0, 0), (3, 1, 0, 0), (3, 0, 1, 0), (3, 1, 1, 0), (3, 0, 2, 0), (3, 1, 2, 0), (3, 0, 3, 0)] */
v_mul_f32 v[vgprValuC+59], s[sgprAlpha], v[vgprValuC+0] // Multiply MI out reg with alpha
v_mul_f32 v[vgprValuC+64], s[sgprAlpha], v[vgprValuC+4] // Multiply MI out reg with alpha
	;; [unrolled: 1-line block ×31, first 2 shown]

/* apply mask, calc new C and issue writes */
s_mov_b64 exec, s[40:41]                           // sgprs -> exec
_global_store_b32 v[60:61], v59, off               // store D
s_mov_b64 exec, s[42:43]                           // sgprs -> exec
_global_store_b32 v[62:63], v64, off               // store D
	;; [unrolled: 2-line block ×13, first 2 shown]
s_mov_b64 exec, s[66:67]                           // sgprs -> exec
_global_store_b32 v[98:99], v100, off              // store D
s_mov_b64 exec, s[68:69]                           // sgprs -> exec
_global_store_b32 v[102:103], v101, off            // store D
s_mov_b64 exec, s[70:71]                           // sgprs -> exec
_global_store_b32 v[104:105], v106, off            // store D
	;; [unrolled: 2-line block ×16, first 2 shown]
s_mov_b64 exec, s[100:101]                         // sgprs -> exec
_global_store_b32 v[152:153], v154, off            // store D
s_mov_b64 exec, -1                                 // full mask -> exec
s_nop 0                                            // 1 wait state required when next inst writes vgprs held by previous dwordx4 store inst
/* optSingleColVgpr=0 optSharedColVgpr=0 optSGPRUsage=None optSrdIncForRow=0 */

/******************************************/
/* Global Write Alpha Edge Batch #1 (d1,d0,vc1,vc0) = */
/*    (3,1,3,0:vw1); (4,0,0,0:vw1); (4,1,0,0:vw1); (4,0,1,0:vw1); (4,1,1,0:vw1); (4,0,2,0:vw1); (4,1,2,0:vw1); (4,0,3,0:vw1); (4,1,3,0:vw1); (5,0,0,0:vw1); (5,1,0,0:vw1); (5,0,1,0:vw1); (5,1,1,0:vw1); (5,0,2,0:vw1); (5,1,2,0:vw1); (5,0,3,0:vw1); (5,1,3,0:vw1) */
/******************************************/

/* calc coords, apply mask, and issue loads (if necessary) */
/* (d1,vc1,d0,vc0)=(3,3,1,0) */
_v_add_co_u32 v54, vcc, v48, 64                    // coord0.1: coord0 += d0*sg0*VW + vc0
GLOBAL_OFFSET_D 60, 54, 49, sgprWorkGroup2, 56
v_mov_b32 v56, v60                                 // temp store offset 0
v_mov_b32 v57, v61                                 // temp store offset 1
v_cmp_lt_u32 s[36:37], v54, s[sgprSizesFree+0]     // coord0 < size0
v_cmp_lt_u32 s[38:39], v49, s[sgprSizesFree+1]     // coord1 < size1
s_and_b64 s[40:41], s[36:37], s[38:39]             // in0 && in1
_v_add_co_u32 v60, vcc, v50, v56                   // addrVgpr = D + index*bytes (lo)
_v_addc_co_u32 v61, vcc, v51, v57, vcc             // addrVgpr = D + index*bytes (hi)
/* (d1,vc1,d0,vc0)=(4,0,0,0) */
_v_add_co_u32 v49, vcc, v49, 13                    // coord1.1: coord1Vgpr += d1*sg1*VW + vc1
GLOBAL_OFFSET_D 62, 48, 49, sgprWorkGroup2, 56
v_mov_b32 v56, v62                                 // temp store offset 0
v_mov_b32 v57, v63                                 // temp store offset 1
v_cmp_lt_u32 s[36:37], v48, s[sgprSizesFree+0]     // coord0 < size0
v_cmp_lt_u32 s[38:39], v49, s[sgprSizesFree+1]     // coord1 < size1
s_and_b64 s[42:43], s[36:37], s[38:39]             // in0 && in1
_v_add_co_u32 v62, vcc, v50, v56                   // addrVgpr = D + index*bytes (lo)
_v_addc_co_u32 v63, vcc, v51, v57, vcc             // addrVgpr = D + index*bytes (hi)
/* (d1,vc1,d0,vc0)=(4,0,1,0) */
_v_add_co_u32 v54, vcc, v48, 64                    // coord0.1: coord0 += d0*sg0*VW + vc0
GLOBAL_OFFSET_D 66, 54, 49, sgprWorkGroup2, 56
v_mov_b32 v56, v66                                 // temp store offset 0
v_mov_b32 v57, v67                                 // temp store offset 1
v_cmp_lt_u32 s[36:37], v54, s[sgprSizesFree+0]     // coord0 < size0
v_cmp_lt_u32 s[38:39], v49, s[sgprSizesFree+1]     // coord1 < size1
s_and_b64 s[44:45], s[36:37], s[38:39]             // in0 && in1
_v_add_co_u32 v66, vcc, v50, v56                   // addrVgpr = D + index*bytes (lo)
_v_addc_co_u32 v67, vcc, v51, v57, vcc             // addrVgpr = D + index*bytes (hi)
/* (d1,vc1,d0,vc0)=(4,1,0,0) */
_v_add_co_u32 v49, vcc, v49, 1                     // coord1.1: coord1Vgpr += d1*sg1*VW + vc1
GLOBAL_OFFSET_D 68, 48, 49, sgprWorkGroup2, 56
v_mov_b32 v56, v68                                 // temp store offset 0
v_mov_b32 v57, v69                                 // temp store offset 1
v_cmp_lt_u32 s[36:37], v48, s[sgprSizesFree+0]     // coord0 < size0
v_cmp_lt_u32 s[38:39], v49, s[sgprSizesFree+1]     // coord1 < size1
s_and_b64 s[46:47], s[36:37], s[38:39]             // in0 && in1
_v_add_co_u32 v68, vcc, v50, v56                   // addrVgpr = D + index*bytes (lo)
_v_addc_co_u32 v69, vcc, v51, v57, vcc             // addrVgpr = D + index*bytes (hi)
/* (d1,vc1,d0,vc0)=(4,1,1,0) */
_v_add_co_u32 v54, vcc, v48, 64                    // coord0.1: coord0 += d0*sg0*VW + vc0
GLOBAL_OFFSET_D 72, 54, 49, sgprWorkGroup2, 56
v_mov_b32 v56, v72                                 // temp store offset 0
v_mov_b32 v57, v73                                 // temp store offset 1
v_cmp_lt_u32 s[36:37], v54, s[sgprSizesFree+0]     // coord0 < size0
v_cmp_lt_u32 s[38:39], v49, s[sgprSizesFree+1]     // coord1 < size1
s_and_b64 s[48:49], s[36:37], s[38:39]             // in0 && in1
_v_add_co_u32 v72, vcc, v50, v56                   // addrVgpr = D + index*bytes (lo)
_v_addc_co_u32 v73, vcc, v51, v57, vcc             // addrVgpr = D + index*bytes (hi)
/* (d1,vc1,d0,vc0)=(4,2,0,0) */
_v_add_co_u32 v49, vcc, v49, 1                     // coord1.1: coord1Vgpr += d1*sg1*VW + vc1
	;; [unrolled: 20-line block ×3, first 2 shown]
GLOBAL_OFFSET_D 80, 48, 49, sgprWorkGroup2, 56
v_mov_b32 v56, v80                                 // temp store offset 0
v_mov_b32 v57, v81                                 // temp store offset 1
v_cmp_lt_u32 s[36:37], v48, s[sgprSizesFree+0]     // coord0 < size0
v_cmp_lt_u32 s[38:39], v49, s[sgprSizesFree+1]     // coord1 < size1
s_and_b64 s[54:55], s[36:37], s[38:39]             // in0 && in1
_v_add_co_u32 v80, vcc, v50, v56                   // addrVgpr = D + index*bytes (lo)
_v_addc_co_u32 v81, vcc, v51, v57, vcc             // addrVgpr = D + index*bytes (hi)
/* (d1,vc1,d0,vc0)=(4,3,1,0) */
_v_add_co_u32 v54, vcc, v48, 64                    // coord0.1: coord0 += d0*sg0*VW + vc0
GLOBAL_OFFSET_D 84, 54, 49, sgprWorkGroup2, 56
v_mov_b32 v56, v84                                 // temp store offset 0
v_mov_b32 v57, v85                                 // temp store offset 1
v_cmp_lt_u32 s[36:37], v54, s[sgprSizesFree+0]     // coord0 < size0
v_cmp_lt_u32 s[38:39], v49, s[sgprSizesFree+1]     // coord1 < size1
s_and_b64 s[56:57], s[36:37], s[38:39]             // in0 && in1
_v_add_co_u32 v84, vcc, v50, v56                   // addrVgpr = D + index*bytes (lo)
_v_addc_co_u32 v85, vcc, v51, v57, vcc             // addrVgpr = D + index*bytes (hi)
/* (d1,vc1,d0,vc0)=(5,0,0,0) */
_v_add_co_u32 v49, vcc, v49, 13                    // coord1.1: coord1Vgpr += d1*sg1*VW + vc1
GLOBAL_OFFSET_D 86, 48, 49, sgprWorkGroup2, 56
v_mov_b32 v56, v86                                 // temp store offset 0
v_mov_b32 v57, v87                                 // temp store offset 1
v_cmp_lt_u32 s[36:37], v48, s[sgprSizesFree+0]     // coord0 < size0
v_cmp_lt_u32 s[38:39], v49, s[sgprSizesFree+1]     // coord1 < size1
s_and_b64 s[58:59], s[36:37], s[38:39]             // in0 && in1
_v_add_co_u32 v86, vcc, v50, v56                   // addrVgpr = D + index*bytes (lo)
_v_addc_co_u32 v87, vcc, v51, v57, vcc             // addrVgpr = D + index*bytes (hi)
/* (d1,vc1,d0,vc0)=(5,0,1,0) */
_v_add_co_u32 v54, vcc, v48, 64                    // coord0.1: coord0 += d0*sg0*VW + vc0
GLOBAL_OFFSET_D 90, 54, 49, sgprWorkGroup2, 56
v_mov_b32 v56, v90                                 // temp store offset 0
v_mov_b32 v57, v91                                 // temp store offset 1
v_cmp_lt_u32 s[36:37], v54, s[sgprSizesFree+0]     // coord0 < size0
v_cmp_lt_u32 s[38:39], v49, s[sgprSizesFree+1]     // coord1 < size1
s_and_b64 s[60:61], s[36:37], s[38:39]             // in0 && in1
_v_add_co_u32 v90, vcc, v50, v56                   // addrVgpr = D + index*bytes (lo)
_v_addc_co_u32 v91, vcc, v51, v57, vcc             // addrVgpr = D + index*bytes (hi)
/* (d1,vc1,d0,vc0)=(5,1,0,0) */
_v_add_co_u32 v49, vcc, v49, 1                     // coord1.1: coord1Vgpr += d1*sg1*VW + vc1
GLOBAL_OFFSET_D 92, 48, 49, sgprWorkGroup2, 56
v_mov_b32 v56, v92                                 // temp store offset 0
v_mov_b32 v57, v93                                 // temp store offset 1
v_cmp_lt_u32 s[36:37], v48, s[sgprSizesFree+0]     // coord0 < size0
v_cmp_lt_u32 s[38:39], v49, s[sgprSizesFree+1]     // coord1 < size1
s_and_b64 s[62:63], s[36:37], s[38:39]             // in0 && in1
_v_add_co_u32 v92, vcc, v50, v56                   // addrVgpr = D + index*bytes (lo)
_v_addc_co_u32 v93, vcc, v51, v57, vcc             // addrVgpr = D + index*bytes (hi)
/* (d1,vc1,d0,vc0)=(5,1,1,0) */
_v_add_co_u32 v54, vcc, v48, 64                    // coord0.1: coord0 += d0*sg0*VW + vc0
GLOBAL_OFFSET_D 96, 54, 49, sgprWorkGroup2, 56
v_mov_b32 v56, v96                                 // temp store offset 0
v_mov_b32 v57, v97                                 // temp store offset 1
v_cmp_lt_u32 s[36:37], v54, s[sgprSizesFree+0]     // coord0 < size0
v_cmp_lt_u32 s[38:39], v49, s[sgprSizesFree+1]     // coord1 < size1
s_and_b64 s[64:65], s[36:37], s[38:39]             // in0 && in1
_v_add_co_u32 v96, vcc, v50, v56                   // addrVgpr = D + index*bytes (lo)
_v_addc_co_u32 v97, vcc, v51, v57, vcc             // addrVgpr = D + index*bytes (hi)
/* (d1,vc1,d0,vc0)=(5,2,0,0) */
_v_add_co_u32 v49, vcc, v49, 1                     // coord1.1: coord1Vgpr += d1*sg1*VW + vc1
GLOBAL_OFFSET_D 98, 48, 49, sgprWorkGroup2, 56
v_mov_b32 v56, v98                                 // temp store offset 0
v_mov_b32 v57, v99                                 // temp store offset 1
v_cmp_lt_u32 s[36:37], v48, s[sgprSizesFree+0]     // coord0 < size0
v_cmp_lt_u32 s[38:39], v49, s[sgprSizesFree+1]     // coord1 < size1
s_and_b64 s[66:67], s[36:37], s[38:39]             // in0 && in1
_v_add_co_u32 v98, vcc, v50, v56                   // addrVgpr = D + index*bytes (lo)
_v_addc_co_u32 v99, vcc, v51, v57, vcc             // addrVgpr = D + index*bytes (hi)
/* (d1,vc1,d0,vc0)=(5,2,1,0) */
_v_add_co_u32 v54, vcc, v48, 64                    // coord0.1: coord0 += d0*sg0*VW + vc0
GLOBAL_OFFSET_D 102, 54, 49, sgprWorkGroup2, 56
v_mov_b32 v56, v102                                // temp store offset 0
v_mov_b32 v57, v103                                // temp store offset 1
v_cmp_lt_u32 s[36:37], v54, s[sgprSizesFree+0]     // coord0 < size0
v_cmp_lt_u32 s[38:39], v49, s[sgprSizesFree+1]     // coord1 < size1
s_and_b64 s[68:69], s[36:37], s[38:39]             // in0 && in1
_v_add_co_u32 v102, vcc, v50, v56                  // addrVgpr = D + index*bytes (lo)
_v_addc_co_u32 v103, vcc, v51, v57, vcc            // addrVgpr = D + index*bytes (hi)
/* (d1,vc1,d0,vc0)=(5,3,0,0) */
_v_add_co_u32 v49, vcc, v49, 1                     // coord1.1: coord1Vgpr += d1*sg1*VW + vc1
GLOBAL_OFFSET_D 104, 48, 49, sgprWorkGroup2, 56
v_mov_b32 v56, v104                                // temp store offset 0
v_mov_b32 v57, v105                                // temp store offset 1
v_cmp_lt_u32 s[36:37], v48, s[sgprSizesFree+0]     // coord0 < size0
v_cmp_lt_u32 s[38:39], v49, s[sgprSizesFree+1]     // coord1 < size1
s_and_b64 s[70:71], s[36:37], s[38:39]             // in0 && in1
_v_add_co_u32 v104, vcc, v50, v56                  // addrVgpr = D + index*bytes (lo)
_v_addc_co_u32 v105, vcc, v51, v57, vcc            // addrVgpr = D + index*bytes (hi)
/* (d1,vc1,d0,vc0)=(5,3,1,0) */
_v_add_co_u32 v54, vcc, v48, 64                    // coord0.1: coord0 += d0*sg0*VW + vc0
GLOBAL_OFFSET_D 108, 54, 49, sgprWorkGroup2, 56
v_mov_b32 v56, v108                                // temp store offset 0
v_mov_b32 v57, v109                                // temp store offset 1
v_cmp_lt_u32 s[36:37], v54, s[sgprSizesFree+0]     // coord0 < size0
v_cmp_lt_u32 s[38:39], v49, s[sgprSizesFree+1]     // coord1 < size1
s_and_b64 s[72:73], s[36:37], s[38:39]             // in0 && in1
_v_add_co_u32 v108, vcc, v50, v56                  // addrVgpr = D + index*bytes (lo)
_v_addc_co_u32 v109, vcc, v51, v57, vcc            // addrVgpr = D + index*bytes (hi)

/* rC *= alpha batchElements=[(3, 1, 3, 0), (4, 0, 0, 0), (4, 1, 0, 0), (4, 0, 1, 0), (4, 1, 1, 0), (4, 0, 2, 0), (4, 1, 2, 0), (4, 0, 3, 0), (4, 1, 3, 0), (5, 0, 0, 0), (5, 1, 0, 0), (5, 0, 1, 0), (5, 1, 1, 0), (5, 0, 2, 0), (5, 1, 2, 0), (5, 0, 3, 0), (5, 1, 3, 0)] */
v_mul_f32 v[vgprValuC+59], s[sgprAlpha], v[vgprValuC+31] // Multiply MI out reg with alpha
v_mul_f32 v[vgprValuC+64], s[sgprAlpha], v[vgprValuC+32] // Multiply MI out reg with alpha
	;; [unrolled: 1-line block ×17, first 2 shown]

/* apply mask, calc new C and issue writes */
s_mov_b64 exec, s[40:41]                           // sgprs -> exec
_global_store_b32 v[60:61], v59, off               // store D
s_mov_b64 exec, s[42:43]                           // sgprs -> exec
_global_store_b32 v[62:63], v64, off               // store D
	;; [unrolled: 2-line block ×13, first 2 shown]
s_mov_b64 exec, s[66:67]                           // sgprs -> exec
_global_store_b32 v[98:99], v100, off              // store D
s_mov_b64 exec, s[68:69]                           // sgprs -> exec
_global_store_b32 v[102:103], v101, off            // store D
s_mov_b64 exec, s[70:71]                           // sgprs -> exec
_global_store_b32 v[104:105], v106, off            // store D
	;; [unrolled: 2-line block ×3, first 2 shown]
s_mov_b64 exec, -1                                 // full mask -> exec
s_nop 0                                            // 1 wait state required when next inst writes vgprs held by previous dwordx4 store inst
s_branch label_GW_End_32                           // jump to end
GW_Beta_33:
s_and_b32 s36, 127, s[sgprSizeI]                   // s36 = s[sgprSizeI] % 128
s_add_u32 s37, -0x1, s[sgprNumWorkGroups0]         // 
s_cmp_ge_u32 s[sgprWorkGroup0], s37                // wg0 >= nwg0-1 ?
s_cselect_b32 s36, s36, 0                          // set rMT0
s_cmpk_gt_u32 s36, 0x0                             // rMT0 > 0
s_cbranch_scc1 GW_B1_E1_31                         // jump if edges required
s_mov_b32 s39, 0x0                                 // STATIC_DIV: divisior=96
s_mul_i32 s38, 0x555, s[sgprSizeJ]                 // tmp1 = dividend * magic hi
s_lshl_b64 s[38:39], s[38:39], 0x10                // left shift 16 bits
s_mul_i32 s37, s[sgprSizeJ], 0x5556                // tmp0 = dividend * magic lo
s_add_u32 s38, s37, s38                            // add lo
s_addc_u32 s39, s39, 0x0                           // add hi
s_lshr_b64 s[38:39], s[38:39], 0x21                // tmp1 = (dividend * magic) << shift
s_mov_b32 s37, s38                                 // quotient
s_mul_i32 s38, s37, 0x60                           // quotient*divisor
s_sub_u32 s36, s[sgprSizeJ], s38                   // rReg = dividend - quotient*divisor
s_add_u32 s37, -0x1, s[sgprNumWorkGroups1]         // 
s_cmp_ge_u32 s[sgprWorkGroup1], s37                // wg1 >= nwg1-1
s_cselect_b32 s36, s36, 0                          // set rMT1
s_cmpk_gt_u32 s36, 0x0                             // rMT1 > 0
s_cbranch_scc1 GW_B1_E1_31                         // jump if edges required
GW_B1_E0_28:

/* edge=0, allocate 56 sgpr. perBatchTmpS=4 perBatchMaskS=0 perElementMaskS=2 elementsPerBatch=26 */
/* optSingleColVgpr=0 optSharedColVgpr=0 optSGPRUsage=None optSrdIncForRow=0 */

/******************************************/
/* Global Write Alpha Beta Batch #0 (d1,d0,vc1,vc0) = */
/*    (0,0,0,0:vw1); (0,1,0,0:vw1); (0,0,1,0:vw1); (0,1,1,0:vw1); (0,0,2,0:vw1); (0,1,2,0:vw1); (0,0,3,0:vw1); (0,1,3,0:vw1); (1,0,0,0:vw1); (1,1,0,0:vw1); (1,0,1,0:vw1); (1,1,1,0:vw1); (1,0,2,0:vw1); (1,1,2,0:vw1); (1,0,3,0:vw1); (1,1,3,0:vw1); (2,0,0,0:vw1); (2,1,0,0:vw1); (2,0,1,0:vw1); (2,1,1,0:vw1); (2,0,2,0:vw1); (2,1,2,0:vw1); (2,0,3,0:vw1); (2,1,3,0:vw1); (3,0,0,0:vw1); (3,1,0,0:vw1) */
/******************************************/

/* calc coords, apply mask, and issue loads (if necessary) */
/* (d1,vc1,d0,vc0)=(0,0,0,0) */
GLOBAL_OFFSET_C 60, 48, 49, sgprWorkGroup2, 56
v_mov_b32 v56, v60                                 // temp store offset 0
v_mov_b32 v57, v61                                 // temp store offset 1
_v_add_co_u32 v60, vcc, v52, v56                   // addrVgpr = C + index*bytes (lo)
_v_addc_co_u32 v61, vcc, v53, v57, vcc             // addrVgpr = C + index*bytes (hi)
_global_load_b32 v59, v[60:61], off, offset:0      // load C for beta calc
GLOBAL_OFFSET_D 60, 48, 49, sgprWorkGroup2, 56
v_mov_b32 v56, v60                                 // temp store offset 0
v_mov_b32 v57, v61                                 // temp store offset 1
_v_add_co_u32 v60, vcc, v50, v56                   // addrVgpr = D + index*bytes (lo)
_v_addc_co_u32 v61, vcc, v51, v57, vcc             // addrVgpr = D + index*bytes (hi)
/* (d1,vc1,d0,vc0)=(0,0,1,0) */
_v_add_co_u32 v54, vcc, v48, 64                    // coord0.1: coord0 += d0*sg0*VW + vc0
GLOBAL_OFFSET_C 64, 54, 49, sgprWorkGroup2, 56
v_mov_b32 v56, v64                                 // temp store offset 0
v_mov_b32 v57, v65                                 // temp store offset 1
_v_add_co_u32 v64, vcc, v52, v56                   // addrVgpr = C + index*bytes (lo)
_v_addc_co_u32 v65, vcc, v53, v57, vcc             // addrVgpr = C + index*bytes (hi)
_global_load_b32 v63, v[64:65], off, offset:0      // load C for beta calc
GLOBAL_OFFSET_D 64, 54, 49, sgprWorkGroup2, 56
v_mov_b32 v56, v64                                 // temp store offset 0
v_mov_b32 v57, v65                                 // temp store offset 1
_v_add_co_u32 v64, vcc, v50, v56                   // addrVgpr = D + index*bytes (lo)
_v_addc_co_u32 v65, vcc, v51, v57, vcc             // addrVgpr = D + index*bytes (hi)
/* (d1,vc1,d0,vc0)=(0,1,0,0) */
_v_add_co_u32 v49, vcc, v49, 1                     // coord1.1: coord1Vgpr += d1*sg1*VW + vc1
GLOBAL_OFFSET_C 68, 48, 49, sgprWorkGroup2, 56
v_mov_b32 v56, v68                                 // temp store offset 0
v_mov_b32 v57, v69                                 // temp store offset 1
_v_add_co_u32 v68, vcc, v52, v56                   // addrVgpr = C + index*bytes (lo)
_v_addc_co_u32 v69, vcc, v53, v57, vcc             // addrVgpr = C + index*bytes (hi)
_global_load_b32 v67, v[68:69], off, offset:0      // load C for beta calc
GLOBAL_OFFSET_D 68, 48, 49, sgprWorkGroup2, 56
v_mov_b32 v56, v68                                 // temp store offset 0
v_mov_b32 v57, v69                                 // temp store offset 1
_v_add_co_u32 v68, vcc, v50, v56                   // addrVgpr = D + index*bytes (lo)
_v_addc_co_u32 v69, vcc, v51, v57, vcc             // addrVgpr = D + index*bytes (hi)
/* (d1,vc1,d0,vc0)=(0,1,1,0) */
_v_add_co_u32 v54, vcc, v48, 64                    // coord0.1: coord0 += d0*sg0*VW + vc0
GLOBAL_OFFSET_C 72, 54, 49, sgprWorkGroup2, 56
v_mov_b32 v56, v72                                 // temp store offset 0
v_mov_b32 v57, v73                                 // temp store offset 1
_v_add_co_u32 v72, vcc, v52, v56                   // addrVgpr = C + index*bytes (lo)
_v_addc_co_u32 v73, vcc, v53, v57, vcc             // addrVgpr = C + index*bytes (hi)
_global_load_b32 v71, v[72:73], off, offset:0      // load C for beta calc
GLOBAL_OFFSET_D 72, 54, 49, sgprWorkGroup2, 56
v_mov_b32 v56, v72                                 // temp store offset 0
v_mov_b32 v57, v73                                 // temp store offset 1
_v_add_co_u32 v72, vcc, v50, v56                   // addrVgpr = D + index*bytes (lo)
_v_addc_co_u32 v73, vcc, v51, v57, vcc             // addrVgpr = D + index*bytes (hi)
/* (d1,vc1,d0,vc0)=(0,2,0,0) */
_v_add_co_u32 v49, vcc, v49, 1                     // coord1.1: coord1Vgpr += d1*sg1*VW + vc1
GLOBAL_OFFSET_C 76, 48, 49, sgprWorkGroup2, 56
v_mov_b32 v56, v76                                 // temp store offset 0
v_mov_b32 v57, v77                                 // temp store offset 1
_v_add_co_u32 v76, vcc, v52, v56                   // addrVgpr = C + index*bytes (lo)
_v_addc_co_u32 v77, vcc, v53, v57, vcc             // addrVgpr = C + index*bytes (hi)
_global_load_b32 v75, v[76:77], off, offset:0      // load C for beta calc
GLOBAL_OFFSET_D 76, 48, 49, sgprWorkGroup2, 56
v_mov_b32 v56, v76                                 // temp store offset 0
v_mov_b32 v57, v77                                 // temp store offset 1
_v_add_co_u32 v76, vcc, v50, v56                   // addrVgpr = D + index*bytes (lo)
_v_addc_co_u32 v77, vcc, v51, v57, vcc             // addrVgpr = D + index*bytes (hi)
/* (d1,vc1,d0,vc0)=(0,2,1,0) */
_v_add_co_u32 v54, vcc, v48, 64                    // coord0.1: coord0 += d0*sg0*VW + vc0
GLOBAL_OFFSET_C 80, 54, 49, sgprWorkGroup2, 56
v_mov_b32 v56, v80                                 // temp store offset 0
v_mov_b32 v57, v81                                 // temp store offset 1
_v_add_co_u32 v80, vcc, v52, v56                   // addrVgpr = C + index*bytes (lo)
_v_addc_co_u32 v81, vcc, v53, v57, vcc             // addrVgpr = C + index*bytes (hi)
_global_load_b32 v79, v[80:81], off, offset:0      // load C for beta calc
GLOBAL_OFFSET_D 80, 54, 49, sgprWorkGroup2, 56
v_mov_b32 v56, v80                                 // temp store offset 0
v_mov_b32 v57, v81                                 // temp store offset 1
_v_add_co_u32 v80, vcc, v50, v56                   // addrVgpr = D + index*bytes (lo)
_v_addc_co_u32 v81, vcc, v51, v57, vcc             // addrVgpr = D + index*bytes (hi)
/* (d1,vc1,d0,vc0)=(0,3,0,0) */
_v_add_co_u32 v49, vcc, v49, 1                     // coord1.1: coord1Vgpr += d1*sg1*VW + vc1
GLOBAL_OFFSET_C 84, 48, 49, sgprWorkGroup2, 56
v_mov_b32 v56, v84                                 // temp store offset 0
v_mov_b32 v57, v85                                 // temp store offset 1
_v_add_co_u32 v84, vcc, v52, v56                   // addrVgpr = C + index*bytes (lo)
_v_addc_co_u32 v85, vcc, v53, v57, vcc             // addrVgpr = C + index*bytes (hi)
_global_load_b32 v83, v[84:85], off, offset:0      // load C for beta calc
GLOBAL_OFFSET_D 84, 48, 49, sgprWorkGroup2, 56
v_mov_b32 v56, v84                                 // temp store offset 0
v_mov_b32 v57, v85                                 // temp store offset 1
_v_add_co_u32 v84, vcc, v50, v56                   // addrVgpr = D + index*bytes (lo)
_v_addc_co_u32 v85, vcc, v51, v57, vcc             // addrVgpr = D + index*bytes (hi)
/* (d1,vc1,d0,vc0)=(0,3,1,0) */
_v_add_co_u32 v54, vcc, v48, 64                    // coord0.1: coord0 += d0*sg0*VW + vc0
GLOBAL_OFFSET_C 88, 54, 49, sgprWorkGroup2, 56
v_mov_b32 v56, v88                                 // temp store offset 0
v_mov_b32 v57, v89                                 // temp store offset 1
_v_add_co_u32 v88, vcc, v52, v56                   // addrVgpr = C + index*bytes (lo)
_v_addc_co_u32 v89, vcc, v53, v57, vcc             // addrVgpr = C + index*bytes (hi)
_global_load_b32 v87, v[88:89], off, offset:0      // load C for beta calc
GLOBAL_OFFSET_D 88, 54, 49, sgprWorkGroup2, 56
v_mov_b32 v56, v88                                 // temp store offset 0
v_mov_b32 v57, v89                                 // temp store offset 1
_v_add_co_u32 v88, vcc, v50, v56                   // addrVgpr = D + index*bytes (lo)
_v_addc_co_u32 v89, vcc, v51, v57, vcc             // addrVgpr = D + index*bytes (hi)
/* (d1,vc1,d0,vc0)=(1,0,0,0) */
_v_add_co_u32 v49, vcc, v49, 13                    // coord1.1: coord1Vgpr += d1*sg1*VW + vc1
GLOBAL_OFFSET_C 92, 48, 49, sgprWorkGroup2, 56
v_mov_b32 v56, v92                                 // temp store offset 0
v_mov_b32 v57, v93                                 // temp store offset 1
_v_add_co_u32 v92, vcc, v52, v56                   // addrVgpr = C + index*bytes (lo)
_v_addc_co_u32 v93, vcc, v53, v57, vcc             // addrVgpr = C + index*bytes (hi)
_global_load_b32 v91, v[92:93], off, offset:0      // load C for beta calc
GLOBAL_OFFSET_D 92, 48, 49, sgprWorkGroup2, 56
v_mov_b32 v56, v92                                 // temp store offset 0
v_mov_b32 v57, v93                                 // temp store offset 1
_v_add_co_u32 v92, vcc, v50, v56                   // addrVgpr = D + index*bytes (lo)
_v_addc_co_u32 v93, vcc, v51, v57, vcc             // addrVgpr = D + index*bytes (hi)
/* (d1,vc1,d0,vc0)=(1,0,1,0) */
_v_add_co_u32 v54, vcc, v48, 64                    // coord0.1: coord0 += d0*sg0*VW + vc0
GLOBAL_OFFSET_C 96, 54, 49, sgprWorkGroup2, 56
v_mov_b32 v56, v96                                 // temp store offset 0
v_mov_b32 v57, v97                                 // temp store offset 1
_v_add_co_u32 v96, vcc, v52, v56                   // addrVgpr = C + index*bytes (lo)
_v_addc_co_u32 v97, vcc, v53, v57, vcc             // addrVgpr = C + index*bytes (hi)
_global_load_b32 v95, v[96:97], off, offset:0      // load C for beta calc
GLOBAL_OFFSET_D 96, 54, 49, sgprWorkGroup2, 56
v_mov_b32 v56, v96                                 // temp store offset 0
v_mov_b32 v57, v97                                 // temp store offset 1
_v_add_co_u32 v96, vcc, v50, v56                   // addrVgpr = D + index*bytes (lo)
_v_addc_co_u32 v97, vcc, v51, v57, vcc             // addrVgpr = D + index*bytes (hi)
/* (d1,vc1,d0,vc0)=(1,1,0,0) */
_v_add_co_u32 v49, vcc, v49, 1                     // coord1.1: coord1Vgpr += d1*sg1*VW + vc1
GLOBAL_OFFSET_C 100, 48, 49, sgprWorkGroup2, 56
v_mov_b32 v56, v100                                // temp store offset 0
v_mov_b32 v57, v101                                // temp store offset 1
_v_add_co_u32 v100, vcc, v52, v56                  // addrVgpr = C + index*bytes (lo)
_v_addc_co_u32 v101, vcc, v53, v57, vcc            // addrVgpr = C + index*bytes (hi)
_global_load_b32 v99, v[100:101], off, offset:0    // load C for beta calc
GLOBAL_OFFSET_D 100, 48, 49, sgprWorkGroup2, 56
v_mov_b32 v56, v100                                // temp store offset 0
v_mov_b32 v57, v101                                // temp store offset 1
_v_add_co_u32 v100, vcc, v50, v56                  // addrVgpr = D + index*bytes (lo)
_v_addc_co_u32 v101, vcc, v51, v57, vcc            // addrVgpr = D + index*bytes (hi)
/* (d1,vc1,d0,vc0)=(1,1,1,0) */
_v_add_co_u32 v54, vcc, v48, 64                    // coord0.1: coord0 += d0*sg0*VW + vc0
GLOBAL_OFFSET_C 104, 54, 49, sgprWorkGroup2, 56
v_mov_b32 v56, v104                                // temp store offset 0
v_mov_b32 v57, v105                                // temp store offset 1
_v_add_co_u32 v104, vcc, v52, v56                  // addrVgpr = C + index*bytes (lo)
_v_addc_co_u32 v105, vcc, v53, v57, vcc            // addrVgpr = C + index*bytes (hi)
_global_load_b32 v103, v[104:105], off, offset:0   // load C for beta calc
GLOBAL_OFFSET_D 104, 54, 49, sgprWorkGroup2, 56
v_mov_b32 v56, v104                                // temp store offset 0
v_mov_b32 v57, v105                                // temp store offset 1
_v_add_co_u32 v104, vcc, v50, v56                  // addrVgpr = D + index*bytes (lo)
_v_addc_co_u32 v105, vcc, v51, v57, vcc            // addrVgpr = D + index*bytes (hi)
/* (d1,vc1,d0,vc0)=(1,2,0,0) */
_v_add_co_u32 v49, vcc, v49, 1                     // coord1.1: coord1Vgpr += d1*sg1*VW + vc1
GLOBAL_OFFSET_C 108, 48, 49, sgprWorkGroup2, 56
v_mov_b32 v56, v108                                // temp store offset 0
v_mov_b32 v57, v109                                // temp store offset 1
_v_add_co_u32 v108, vcc, v52, v56                  // addrVgpr = C + index*bytes (lo)
_v_addc_co_u32 v109, vcc, v53, v57, vcc            // addrVgpr = C + index*bytes (hi)
_global_load_b32 v107, v[108:109], off, offset:0   // load C for beta calc
GLOBAL_OFFSET_D 108, 48, 49, sgprWorkGroup2, 56
v_mov_b32 v56, v108                                // temp store offset 0
v_mov_b32 v57, v109                                // temp store offset 1
_v_add_co_u32 v108, vcc, v50, v56                  // addrVgpr = D + index*bytes (lo)
_v_addc_co_u32 v109, vcc, v51, v57, vcc            // addrVgpr = D + index*bytes (hi)
/* (d1,vc1,d0,vc0)=(1,2,1,0) */
_v_add_co_u32 v54, vcc, v48, 64                    // coord0.1: coord0 += d0*sg0*VW + vc0
GLOBAL_OFFSET_C 112, 54, 49, sgprWorkGroup2, 56
v_mov_b32 v56, v112                                // temp store offset 0
v_mov_b32 v57, v113                                // temp store offset 1
_v_add_co_u32 v112, vcc, v52, v56                  // addrVgpr = C + index*bytes (lo)
_v_addc_co_u32 v113, vcc, v53, v57, vcc            // addrVgpr = C + index*bytes (hi)
_global_load_b32 v111, v[112:113], off, offset:0   // load C for beta calc
GLOBAL_OFFSET_D 112, 54, 49, sgprWorkGroup2, 56
v_mov_b32 v56, v112                                // temp store offset 0
v_mov_b32 v57, v113                                // temp store offset 1
_v_add_co_u32 v112, vcc, v50, v56                  // addrVgpr = D + index*bytes (lo)
_v_addc_co_u32 v113, vcc, v51, v57, vcc            // addrVgpr = D + index*bytes (hi)
/* (d1,vc1,d0,vc0)=(1,3,0,0) */
_v_add_co_u32 v49, vcc, v49, 1                     // coord1.1: coord1Vgpr += d1*sg1*VW + vc1
GLOBAL_OFFSET_C 116, 48, 49, sgprWorkGroup2, 56
v_mov_b32 v56, v116                                // temp store offset 0
v_mov_b32 v57, v117                                // temp store offset 1
_v_add_co_u32 v116, vcc, v52, v56                  // addrVgpr = C + index*bytes (lo)
_v_addc_co_u32 v117, vcc, v53, v57, vcc            // addrVgpr = C + index*bytes (hi)
_global_load_b32 v115, v[116:117], off, offset:0   // load C for beta calc
GLOBAL_OFFSET_D 116, 48, 49, sgprWorkGroup2, 56
v_mov_b32 v56, v116                                // temp store offset 0
v_mov_b32 v57, v117                                // temp store offset 1
_v_add_co_u32 v116, vcc, v50, v56                  // addrVgpr = D + index*bytes (lo)
_v_addc_co_u32 v117, vcc, v51, v57, vcc            // addrVgpr = D + index*bytes (hi)
/* (d1,vc1,d0,vc0)=(1,3,1,0) */
_v_add_co_u32 v54, vcc, v48, 64                    // coord0.1: coord0 += d0*sg0*VW + vc0
GLOBAL_OFFSET_C 120, 54, 49, sgprWorkGroup2, 56
v_mov_b32 v56, v120                                // temp store offset 0
v_mov_b32 v57, v121                                // temp store offset 1
_v_add_co_u32 v120, vcc, v52, v56                  // addrVgpr = C + index*bytes (lo)
_v_addc_co_u32 v121, vcc, v53, v57, vcc            // addrVgpr = C + index*bytes (hi)
_global_load_b32 v119, v[120:121], off, offset:0   // load C for beta calc
GLOBAL_OFFSET_D 120, 54, 49, sgprWorkGroup2, 56
v_mov_b32 v56, v120                                // temp store offset 0
v_mov_b32 v57, v121                                // temp store offset 1
_v_add_co_u32 v120, vcc, v50, v56                  // addrVgpr = D + index*bytes (lo)
_v_addc_co_u32 v121, vcc, v51, v57, vcc            // addrVgpr = D + index*bytes (hi)
/* (d1,vc1,d0,vc0)=(2,0,0,0) */
_v_add_co_u32 v49, vcc, v49, 13                    // coord1.1: coord1Vgpr += d1*sg1*VW + vc1
GLOBAL_OFFSET_C 124, 48, 49, sgprWorkGroup2, 56
v_mov_b32 v56, v124                                // temp store offset 0
v_mov_b32 v57, v125                                // temp store offset 1
_v_add_co_u32 v124, vcc, v52, v56                  // addrVgpr = C + index*bytes (lo)
_v_addc_co_u32 v125, vcc, v53, v57, vcc            // addrVgpr = C + index*bytes (hi)
_global_load_b32 v123, v[124:125], off, offset:0   // load C for beta calc
GLOBAL_OFFSET_D 124, 48, 49, sgprWorkGroup2, 56
v_mov_b32 v56, v124                                // temp store offset 0
v_mov_b32 v57, v125                                // temp store offset 1
_v_add_co_u32 v124, vcc, v50, v56                  // addrVgpr = D + index*bytes (lo)
_v_addc_co_u32 v125, vcc, v51, v57, vcc            // addrVgpr = D + index*bytes (hi)
/* (d1,vc1,d0,vc0)=(2,0,1,0) */
_v_add_co_u32 v54, vcc, v48, 64                    // coord0.1: coord0 += d0*sg0*VW + vc0
GLOBAL_OFFSET_C 132, 54, 49, sgprWorkGroup2, 56
v_mov_b32 v56, v132                                // temp store offset 0
v_mov_b32 v57, v133                                // temp store offset 1
_v_add_co_u32 v132, vcc, v52, v56                  // addrVgpr = C + index*bytes (lo)
_v_addc_co_u32 v133, vcc, v53, v57, vcc            // addrVgpr = C + index*bytes (hi)
_global_load_b32 v127, v[132:133], off, offset:0   // load C for beta calc
GLOBAL_OFFSET_D 132, 54, 49, sgprWorkGroup2, 56
v_mov_b32 v56, v132                                // temp store offset 0
v_mov_b32 v57, v133                                // temp store offset 1
_v_add_co_u32 v132, vcc, v50, v56                  // addrVgpr = D + index*bytes (lo)
_v_addc_co_u32 v133, vcc, v51, v57, vcc            // addrVgpr = D + index*bytes (hi)
/* (d1,vc1,d0,vc0)=(2,1,0,0) */
_v_add_co_u32 v49, vcc, v49, 1                     // coord1.1: coord1Vgpr += d1*sg1*VW + vc1
GLOBAL_OFFSET_C 134, 48, 49, sgprWorkGroup2, 56
v_mov_b32 v56, v134                                // temp store offset 0
v_mov_b32 v57, v135                                // temp store offset 1
_v_add_co_u32 v134, vcc, v52, v56                  // addrVgpr = C + index*bytes (lo)
_v_addc_co_u32 v135, vcc, v53, v57, vcc            // addrVgpr = C + index*bytes (hi)
_global_load_b32 v136, v[134:135], off, offset:0   // load C for beta calc
GLOBAL_OFFSET_D 134, 48, 49, sgprWorkGroup2, 56
v_mov_b32 v56, v134                                // temp store offset 0
v_mov_b32 v57, v135                                // temp store offset 1
_v_add_co_u32 v134, vcc, v50, v56                  // addrVgpr = D + index*bytes (lo)
_v_addc_co_u32 v135, vcc, v51, v57, vcc            // addrVgpr = D + index*bytes (hi)
/* (d1,vc1,d0,vc0)=(2,1,1,0) */
_v_add_co_u32 v54, vcc, v48, 64                    // coord0.1: coord0 += d0*sg0*VW + vc0
GLOBAL_OFFSET_C 138, 54, 49, sgprWorkGroup2, 56
v_mov_b32 v56, v138                                // temp store offset 0
v_mov_b32 v57, v139                                // temp store offset 1
_v_add_co_u32 v138, vcc, v52, v56                  // addrVgpr = C + index*bytes (lo)
_v_addc_co_u32 v139, vcc, v53, v57, vcc            // addrVgpr = C + index*bytes (hi)
_global_load_b32 v140, v[138:139], off, offset:0   // load C for beta calc
GLOBAL_OFFSET_D 138, 54, 49, sgprWorkGroup2, 56
v_mov_b32 v56, v138                                // temp store offset 0
v_mov_b32 v57, v139                                // temp store offset 1
_v_add_co_u32 v138, vcc, v50, v56                  // addrVgpr = D + index*bytes (lo)
_v_addc_co_u32 v139, vcc, v51, v57, vcc            // addrVgpr = D + index*bytes (hi)
/* (d1,vc1,d0,vc0)=(2,2,0,0) */
_v_add_co_u32 v49, vcc, v49, 1                     // coord1.1: coord1Vgpr += d1*sg1*VW + vc1
	;; [unrolled: 26-line block ×3, first 2 shown]
GLOBAL_OFFSET_C 150, 48, 49, sgprWorkGroup2, 56
v_mov_b32 v56, v150                                // temp store offset 0
v_mov_b32 v57, v151                                // temp store offset 1
_v_add_co_u32 v150, vcc, v52, v56                  // addrVgpr = C + index*bytes (lo)
_v_addc_co_u32 v151, vcc, v53, v57, vcc            // addrVgpr = C + index*bytes (hi)
_global_load_b32 v152, v[150:151], off, offset:0   // load C for beta calc
GLOBAL_OFFSET_D 150, 48, 49, sgprWorkGroup2, 56
v_mov_b32 v56, v150                                // temp store offset 0
v_mov_b32 v57, v151                                // temp store offset 1
_v_add_co_u32 v150, vcc, v50, v56                  // addrVgpr = D + index*bytes (lo)
_v_addc_co_u32 v151, vcc, v51, v57, vcc            // addrVgpr = D + index*bytes (hi)
/* (d1,vc1,d0,vc0)=(2,3,1,0) */
_v_add_co_u32 v54, vcc, v48, 64                    // coord0.1: coord0 += d0*sg0*VW + vc0
GLOBAL_OFFSET_C 154, 54, 49, sgprWorkGroup2, 56
v_mov_b32 v56, v154                                // temp store offset 0
v_mov_b32 v57, v155                                // temp store offset 1
_v_add_co_u32 v154, vcc, v52, v56                  // addrVgpr = C + index*bytes (lo)
_v_addc_co_u32 v155, vcc, v53, v57, vcc            // addrVgpr = C + index*bytes (hi)
_global_load_b32 v156, v[154:155], off, offset:0   // load C for beta calc
GLOBAL_OFFSET_D 154, 54, 49, sgprWorkGroup2, 56
v_mov_b32 v56, v154                                // temp store offset 0
v_mov_b32 v57, v155                                // temp store offset 1
_v_add_co_u32 v154, vcc, v50, v56                  // addrVgpr = D + index*bytes (lo)
_v_addc_co_u32 v155, vcc, v51, v57, vcc            // addrVgpr = D + index*bytes (hi)
/* (d1,vc1,d0,vc0)=(3,0,0,0) */
_v_add_co_u32 v49, vcc, v49, 13                    // coord1.1: coord1Vgpr += d1*sg1*VW + vc1
GLOBAL_OFFSET_C 158, 48, 49, sgprWorkGroup2, 56
v_mov_b32 v56, v158                                // temp store offset 0
v_mov_b32 v57, v159                                // temp store offset 1
_v_add_co_u32 v158, vcc, v52, v56                  // addrVgpr = C + index*bytes (lo)
_v_addc_co_u32 v159, vcc, v53, v57, vcc            // addrVgpr = C + index*bytes (hi)
_global_load_b32 v160, v[158:159], off, offset:0   // load C for beta calc
GLOBAL_OFFSET_D 158, 48, 49, sgprWorkGroup2, 56
v_mov_b32 v56, v158                                // temp store offset 0
v_mov_b32 v57, v159                                // temp store offset 1
_v_add_co_u32 v158, vcc, v50, v56                  // addrVgpr = D + index*bytes (lo)
_v_addc_co_u32 v159, vcc, v51, v57, vcc            // addrVgpr = D + index*bytes (hi)
/* (d1,vc1,d0,vc0)=(3,0,1,0) */
_v_add_co_u32 v54, vcc, v48, 64                    // coord0.1: coord0 += d0*sg0*VW + vc0
GLOBAL_OFFSET_C 162, 54, 49, sgprWorkGroup2, 56
v_mov_b32 v56, v162                                // temp store offset 0
v_mov_b32 v57, v163                                // temp store offset 1
_v_add_co_u32 v162, vcc, v52, v56                  // addrVgpr = C + index*bytes (lo)
_v_addc_co_u32 v163, vcc, v53, v57, vcc            // addrVgpr = C + index*bytes (hi)
_global_load_b32 v164, v[162:163], off, offset:0   // load C for beta calc
GLOBAL_OFFSET_D 162, 54, 49, sgprWorkGroup2, 56
v_mov_b32 v56, v162                                // temp store offset 0
v_mov_b32 v57, v163                                // temp store offset 1
_v_add_co_u32 v162, vcc, v50, v56                  // addrVgpr = D + index*bytes (lo)
_v_addc_co_u32 v163, vcc, v51, v57, vcc            // addrVgpr = D + index*bytes (hi)

/* rC *= alpha batchElements=[(0, 0, 0, 0), (0, 1, 0, 0), (0, 0, 1, 0), (0, 1, 1, 0), (0, 0, 2, 0), (0, 1, 2, 0), (0, 0, 3, 0), (0, 1, 3, 0), (1, 0, 0, 0), (1, 1, 0, 0), (1, 0, 1, 0), (1, 1, 1, 0), (1, 0, 2, 0), (1, 1, 2, 0), (1, 0, 3, 0), (1, 1, 3, 0), (2, 0, 0, 0), (2, 1, 0, 0), (2, 0, 1, 0), (2, 1, 1, 0), (2, 0, 2, 0), (2, 1, 2, 0), (2, 0, 3, 0), (2, 1, 3, 0), (3, 0, 0, 0), (3, 1, 0, 0)] */
v_mul_f32 v[vgprValuC+62], s[sgprAlpha], v[vgprValuC+0] // Multiply MI out reg with alpha
v_mul_f32 v[vgprValuC+66], s[sgprAlpha], v[vgprValuC+4] // Multiply MI out reg with alpha
	;; [unrolled: 1-line block ×26, first 2 shown]
s_waitcnt vmcnt(0)                                 // wait C

/* apply mask, calc new C and issue writes */
_v_mac_f32 v[vgprValuC+62], v59, s[sgprBeta]       // finalSum = sum*alpha + C*beta
_global_store_b32 v[60:61], v62, off               // store D
_v_mac_f32 v[vgprValuC+66], v63, s[sgprBeta]       // finalSum = sum*alpha + C*beta
_global_store_b32 v[64:65], v66, off               // store D
	;; [unrolled: 2-line block ×10, first 2 shown]
_v_mac_f32 v[vgprValuC+102], v99, s[sgprBeta]      // finalSum = sum*alpha + C*beta
_global_store_b32 v[100:101], v102, off            // store D
_v_mac_f32 v[vgprValuC+106], v103, s[sgprBeta]     // finalSum = sum*alpha + C*beta
_global_store_b32 v[104:105], v106, off            // store D
_v_mac_f32 v[vgprValuC+110], v107, s[sgprBeta]     // finalSum = sum*alpha + C*beta
	;; [unrolled: 2-line block ×15, first 2 shown]
_global_store_b32 v[162:163], v165, off            // store D
s_nop 0                                            // 1 wait state required when next inst writes vgprs held by previous dwordx4 store inst
/* optSingleColVgpr=0 optSharedColVgpr=0 optSGPRUsage=None optSrdIncForRow=0 */

/******************************************/
/* Global Write Alpha Beta Batch #1 (d1,d0,vc1,vc0) = */
/*    (3,0,1,0:vw1); (3,1,1,0:vw1); (3,0,2,0:vw1); (3,1,2,0:vw1); (3,0,3,0:vw1); (3,1,3,0:vw1); (4,0,0,0:vw1); (4,1,0,0:vw1); (4,0,1,0:vw1); (4,1,1,0:vw1); (4,0,2,0:vw1); (4,1,2,0:vw1); (4,0,3,0:vw1); (4,1,3,0:vw1); (5,0,0,0:vw1); (5,1,0,0:vw1); (5,0,1,0:vw1); (5,1,1,0:vw1); (5,0,2,0:vw1); (5,1,2,0:vw1); (5,0,3,0:vw1); (5,1,3,0:vw1) */
/******************************************/

/* calc coords, apply mask, and issue loads (if necessary) */
/* (d1,vc1,d0,vc0)=(3,1,0,0) */
_v_add_co_u32 v49, vcc, v49, 1                     // coord1.1: coord1Vgpr += d1*sg1*VW + vc1
GLOBAL_OFFSET_C 60, 48, 49, sgprWorkGroup2, 56
v_mov_b32 v56, v60                                 // temp store offset 0
v_mov_b32 v57, v61                                 // temp store offset 1
_v_add_co_u32 v60, vcc, v52, v56                   // addrVgpr = C + index*bytes (lo)
_v_addc_co_u32 v61, vcc, v53, v57, vcc             // addrVgpr = C + index*bytes (hi)
_global_load_b32 v59, v[60:61], off, offset:0      // load C for beta calc
GLOBAL_OFFSET_D 60, 48, 49, sgprWorkGroup2, 56
v_mov_b32 v56, v60                                 // temp store offset 0
v_mov_b32 v57, v61                                 // temp store offset 1
_v_add_co_u32 v60, vcc, v50, v56                   // addrVgpr = D + index*bytes (lo)
_v_addc_co_u32 v61, vcc, v51, v57, vcc             // addrVgpr = D + index*bytes (hi)
/* (d1,vc1,d0,vc0)=(3,1,1,0) */
_v_add_co_u32 v54, vcc, v48, 64                    // coord0.1: coord0 += d0*sg0*VW + vc0
GLOBAL_OFFSET_C 64, 54, 49, sgprWorkGroup2, 56
v_mov_b32 v56, v64                                 // temp store offset 0
v_mov_b32 v57, v65                                 // temp store offset 1
_v_add_co_u32 v64, vcc, v52, v56                   // addrVgpr = C + index*bytes (lo)
_v_addc_co_u32 v65, vcc, v53, v57, vcc             // addrVgpr = C + index*bytes (hi)
_global_load_b32 v63, v[64:65], off, offset:0      // load C for beta calc
GLOBAL_OFFSET_D 64, 54, 49, sgprWorkGroup2, 56
v_mov_b32 v56, v64                                 // temp store offset 0
v_mov_b32 v57, v65                                 // temp store offset 1
_v_add_co_u32 v64, vcc, v50, v56                   // addrVgpr = D + index*bytes (lo)
_v_addc_co_u32 v65, vcc, v51, v57, vcc             // addrVgpr = D + index*bytes (hi)
/* (d1,vc1,d0,vc0)=(3,2,0,0) */
_v_add_co_u32 v49, vcc, v49, 1                     // coord1.1: coord1Vgpr += d1*sg1*VW + vc1
GLOBAL_OFFSET_C 68, 48, 49, sgprWorkGroup2, 56
v_mov_b32 v56, v68                                 // temp store offset 0
v_mov_b32 v57, v69                                 // temp store offset 1
_v_add_co_u32 v68, vcc, v52, v56                   // addrVgpr = C + index*bytes (lo)
_v_addc_co_u32 v69, vcc, v53, v57, vcc             // addrVgpr = C + index*bytes (hi)
_global_load_b32 v67, v[68:69], off, offset:0      // load C for beta calc
GLOBAL_OFFSET_D 68, 48, 49, sgprWorkGroup2, 56
v_mov_b32 v56, v68                                 // temp store offset 0
v_mov_b32 v57, v69                                 // temp store offset 1
_v_add_co_u32 v68, vcc, v50, v56                   // addrVgpr = D + index*bytes (lo)
_v_addc_co_u32 v69, vcc, v51, v57, vcc             // addrVgpr = D + index*bytes (hi)
/* (d1,vc1,d0,vc0)=(3,2,1,0) */
_v_add_co_u32 v54, vcc, v48, 64                    // coord0.1: coord0 += d0*sg0*VW + vc0
GLOBAL_OFFSET_C 72, 54, 49, sgprWorkGroup2, 56
v_mov_b32 v56, v72                                 // temp store offset 0
v_mov_b32 v57, v73                                 // temp store offset 1
_v_add_co_u32 v72, vcc, v52, v56                   // addrVgpr = C + index*bytes (lo)
_v_addc_co_u32 v73, vcc, v53, v57, vcc             // addrVgpr = C + index*bytes (hi)
_global_load_b32 v71, v[72:73], off, offset:0      // load C for beta calc
GLOBAL_OFFSET_D 72, 54, 49, sgprWorkGroup2, 56
v_mov_b32 v56, v72                                 // temp store offset 0
v_mov_b32 v57, v73                                 // temp store offset 1
_v_add_co_u32 v72, vcc, v50, v56                   // addrVgpr = D + index*bytes (lo)
_v_addc_co_u32 v73, vcc, v51, v57, vcc             // addrVgpr = D + index*bytes (hi)
/* (d1,vc1,d0,vc0)=(3,3,0,0) */
_v_add_co_u32 v49, vcc, v49, 1                     // coord1.1: coord1Vgpr += d1*sg1*VW + vc1
GLOBAL_OFFSET_C 76, 48, 49, sgprWorkGroup2, 56
v_mov_b32 v56, v76                                 // temp store offset 0
v_mov_b32 v57, v77                                 // temp store offset 1
_v_add_co_u32 v76, vcc, v52, v56                   // addrVgpr = C + index*bytes (lo)
_v_addc_co_u32 v77, vcc, v53, v57, vcc             // addrVgpr = C + index*bytes (hi)
_global_load_b32 v75, v[76:77], off, offset:0      // load C for beta calc
GLOBAL_OFFSET_D 76, 48, 49, sgprWorkGroup2, 56
v_mov_b32 v56, v76                                 // temp store offset 0
v_mov_b32 v57, v77                                 // temp store offset 1
_v_add_co_u32 v76, vcc, v50, v56                   // addrVgpr = D + index*bytes (lo)
_v_addc_co_u32 v77, vcc, v51, v57, vcc             // addrVgpr = D + index*bytes (hi)
/* (d1,vc1,d0,vc0)=(3,3,1,0) */
_v_add_co_u32 v54, vcc, v48, 64                    // coord0.1: coord0 += d0*sg0*VW + vc0
GLOBAL_OFFSET_C 80, 54, 49, sgprWorkGroup2, 56
v_mov_b32 v56, v80                                 // temp store offset 0
v_mov_b32 v57, v81                                 // temp store offset 1
_v_add_co_u32 v80, vcc, v52, v56                   // addrVgpr = C + index*bytes (lo)
_v_addc_co_u32 v81, vcc, v53, v57, vcc             // addrVgpr = C + index*bytes (hi)
_global_load_b32 v79, v[80:81], off, offset:0      // load C for beta calc
GLOBAL_OFFSET_D 80, 54, 49, sgprWorkGroup2, 56
v_mov_b32 v56, v80                                 // temp store offset 0
v_mov_b32 v57, v81                                 // temp store offset 1
_v_add_co_u32 v80, vcc, v50, v56                   // addrVgpr = D + index*bytes (lo)
_v_addc_co_u32 v81, vcc, v51, v57, vcc             // addrVgpr = D + index*bytes (hi)
/* (d1,vc1,d0,vc0)=(4,0,0,0) */
_v_add_co_u32 v49, vcc, v49, 13                    // coord1.1: coord1Vgpr += d1*sg1*VW + vc1
GLOBAL_OFFSET_C 84, 48, 49, sgprWorkGroup2, 56
v_mov_b32 v56, v84                                 // temp store offset 0
v_mov_b32 v57, v85                                 // temp store offset 1
_v_add_co_u32 v84, vcc, v52, v56                   // addrVgpr = C + index*bytes (lo)
_v_addc_co_u32 v85, vcc, v53, v57, vcc             // addrVgpr = C + index*bytes (hi)
_global_load_b32 v83, v[84:85], off, offset:0      // load C for beta calc
GLOBAL_OFFSET_D 84, 48, 49, sgprWorkGroup2, 56
v_mov_b32 v56, v84                                 // temp store offset 0
v_mov_b32 v57, v85                                 // temp store offset 1
_v_add_co_u32 v84, vcc, v50, v56                   // addrVgpr = D + index*bytes (lo)
_v_addc_co_u32 v85, vcc, v51, v57, vcc             // addrVgpr = D + index*bytes (hi)
/* (d1,vc1,d0,vc0)=(4,0,1,0) */
_v_add_co_u32 v54, vcc, v48, 64                    // coord0.1: coord0 += d0*sg0*VW + vc0
GLOBAL_OFFSET_C 88, 54, 49, sgprWorkGroup2, 56
v_mov_b32 v56, v88                                 // temp store offset 0
v_mov_b32 v57, v89                                 // temp store offset 1
_v_add_co_u32 v88, vcc, v52, v56                   // addrVgpr = C + index*bytes (lo)
_v_addc_co_u32 v89, vcc, v53, v57, vcc             // addrVgpr = C + index*bytes (hi)
_global_load_b32 v87, v[88:89], off, offset:0      // load C for beta calc
GLOBAL_OFFSET_D 88, 54, 49, sgprWorkGroup2, 56
v_mov_b32 v56, v88                                 // temp store offset 0
v_mov_b32 v57, v89                                 // temp store offset 1
_v_add_co_u32 v88, vcc, v50, v56                   // addrVgpr = D + index*bytes (lo)
_v_addc_co_u32 v89, vcc, v51, v57, vcc             // addrVgpr = D + index*bytes (hi)
/* (d1,vc1,d0,vc0)=(4,1,0,0) */
_v_add_co_u32 v49, vcc, v49, 1                     // coord1.1: coord1Vgpr += d1*sg1*VW + vc1
GLOBAL_OFFSET_C 92, 48, 49, sgprWorkGroup2, 56
v_mov_b32 v56, v92                                 // temp store offset 0
v_mov_b32 v57, v93                                 // temp store offset 1
_v_add_co_u32 v92, vcc, v52, v56                   // addrVgpr = C + index*bytes (lo)
_v_addc_co_u32 v93, vcc, v53, v57, vcc             // addrVgpr = C + index*bytes (hi)
_global_load_b32 v91, v[92:93], off, offset:0      // load C for beta calc
GLOBAL_OFFSET_D 92, 48, 49, sgprWorkGroup2, 56
v_mov_b32 v56, v92                                 // temp store offset 0
v_mov_b32 v57, v93                                 // temp store offset 1
_v_add_co_u32 v92, vcc, v50, v56                   // addrVgpr = D + index*bytes (lo)
_v_addc_co_u32 v93, vcc, v51, v57, vcc             // addrVgpr = D + index*bytes (hi)
/* (d1,vc1,d0,vc0)=(4,1,1,0) */
_v_add_co_u32 v54, vcc, v48, 64                    // coord0.1: coord0 += d0*sg0*VW + vc0
GLOBAL_OFFSET_C 96, 54, 49, sgprWorkGroup2, 56
v_mov_b32 v56, v96                                 // temp store offset 0
v_mov_b32 v57, v97                                 // temp store offset 1
_v_add_co_u32 v96, vcc, v52, v56                   // addrVgpr = C + index*bytes (lo)
_v_addc_co_u32 v97, vcc, v53, v57, vcc             // addrVgpr = C + index*bytes (hi)
_global_load_b32 v95, v[96:97], off, offset:0      // load C for beta calc
GLOBAL_OFFSET_D 96, 54, 49, sgprWorkGroup2, 56
v_mov_b32 v56, v96                                 // temp store offset 0
v_mov_b32 v57, v97                                 // temp store offset 1
_v_add_co_u32 v96, vcc, v50, v56                   // addrVgpr = D + index*bytes (lo)
_v_addc_co_u32 v97, vcc, v51, v57, vcc             // addrVgpr = D + index*bytes (hi)
/* (d1,vc1,d0,vc0)=(4,2,0,0) */
_v_add_co_u32 v49, vcc, v49, 1                     // coord1.1: coord1Vgpr += d1*sg1*VW + vc1
GLOBAL_OFFSET_C 100, 48, 49, sgprWorkGroup2, 56
v_mov_b32 v56, v100                                // temp store offset 0
v_mov_b32 v57, v101                                // temp store offset 1
_v_add_co_u32 v100, vcc, v52, v56                  // addrVgpr = C + index*bytes (lo)
_v_addc_co_u32 v101, vcc, v53, v57, vcc            // addrVgpr = C + index*bytes (hi)
_global_load_b32 v99, v[100:101], off, offset:0    // load C for beta calc
GLOBAL_OFFSET_D 100, 48, 49, sgprWorkGroup2, 56
v_mov_b32 v56, v100                                // temp store offset 0
v_mov_b32 v57, v101                                // temp store offset 1
_v_add_co_u32 v100, vcc, v50, v56                  // addrVgpr = D + index*bytes (lo)
_v_addc_co_u32 v101, vcc, v51, v57, vcc            // addrVgpr = D + index*bytes (hi)
/* (d1,vc1,d0,vc0)=(4,2,1,0) */
_v_add_co_u32 v54, vcc, v48, 64                    // coord0.1: coord0 += d0*sg0*VW + vc0
GLOBAL_OFFSET_C 104, 54, 49, sgprWorkGroup2, 56
v_mov_b32 v56, v104                                // temp store offset 0
v_mov_b32 v57, v105                                // temp store offset 1
_v_add_co_u32 v104, vcc, v52, v56                  // addrVgpr = C + index*bytes (lo)
_v_addc_co_u32 v105, vcc, v53, v57, vcc            // addrVgpr = C + index*bytes (hi)
_global_load_b32 v103, v[104:105], off, offset:0   // load C for beta calc
GLOBAL_OFFSET_D 104, 54, 49, sgprWorkGroup2, 56
v_mov_b32 v56, v104                                // temp store offset 0
v_mov_b32 v57, v105                                // temp store offset 1
_v_add_co_u32 v104, vcc, v50, v56                  // addrVgpr = D + index*bytes (lo)
_v_addc_co_u32 v105, vcc, v51, v57, vcc            // addrVgpr = D + index*bytes (hi)
/* (d1,vc1,d0,vc0)=(4,3,0,0) */
_v_add_co_u32 v49, vcc, v49, 1                     // coord1.1: coord1Vgpr += d1*sg1*VW + vc1
GLOBAL_OFFSET_C 108, 48, 49, sgprWorkGroup2, 56
v_mov_b32 v56, v108                                // temp store offset 0
v_mov_b32 v57, v109                                // temp store offset 1
_v_add_co_u32 v108, vcc, v52, v56                  // addrVgpr = C + index*bytes (lo)
_v_addc_co_u32 v109, vcc, v53, v57, vcc            // addrVgpr = C + index*bytes (hi)
_global_load_b32 v107, v[108:109], off, offset:0   // load C for beta calc
GLOBAL_OFFSET_D 108, 48, 49, sgprWorkGroup2, 56
v_mov_b32 v56, v108                                // temp store offset 0
v_mov_b32 v57, v109                                // temp store offset 1
_v_add_co_u32 v108, vcc, v50, v56                  // addrVgpr = D + index*bytes (lo)
_v_addc_co_u32 v109, vcc, v51, v57, vcc            // addrVgpr = D + index*bytes (hi)
/* (d1,vc1,d0,vc0)=(4,3,1,0) */
_v_add_co_u32 v54, vcc, v48, 64                    // coord0.1: coord0 += d0*sg0*VW + vc0
GLOBAL_OFFSET_C 112, 54, 49, sgprWorkGroup2, 56
v_mov_b32 v56, v112                                // temp store offset 0
v_mov_b32 v57, v113                                // temp store offset 1
_v_add_co_u32 v112, vcc, v52, v56                  // addrVgpr = C + index*bytes (lo)
_v_addc_co_u32 v113, vcc, v53, v57, vcc            // addrVgpr = C + index*bytes (hi)
_global_load_b32 v111, v[112:113], off, offset:0   // load C for beta calc
GLOBAL_OFFSET_D 112, 54, 49, sgprWorkGroup2, 56
v_mov_b32 v56, v112                                // temp store offset 0
v_mov_b32 v57, v113                                // temp store offset 1
_v_add_co_u32 v112, vcc, v50, v56                  // addrVgpr = D + index*bytes (lo)
_v_addc_co_u32 v113, vcc, v51, v57, vcc            // addrVgpr = D + index*bytes (hi)
/* (d1,vc1,d0,vc0)=(5,0,0,0) */
_v_add_co_u32 v49, vcc, v49, 13                    // coord1.1: coord1Vgpr += d1*sg1*VW + vc1
GLOBAL_OFFSET_C 116, 48, 49, sgprWorkGroup2, 56
v_mov_b32 v56, v116                                // temp store offset 0
v_mov_b32 v57, v117                                // temp store offset 1
_v_add_co_u32 v116, vcc, v52, v56                  // addrVgpr = C + index*bytes (lo)
_v_addc_co_u32 v117, vcc, v53, v57, vcc            // addrVgpr = C + index*bytes (hi)
_global_load_b32 v115, v[116:117], off, offset:0   // load C for beta calc
GLOBAL_OFFSET_D 116, 48, 49, sgprWorkGroup2, 56
v_mov_b32 v56, v116                                // temp store offset 0
v_mov_b32 v57, v117                                // temp store offset 1
_v_add_co_u32 v116, vcc, v50, v56                  // addrVgpr = D + index*bytes (lo)
_v_addc_co_u32 v117, vcc, v51, v57, vcc            // addrVgpr = D + index*bytes (hi)
/* (d1,vc1,d0,vc0)=(5,0,1,0) */
_v_add_co_u32 v54, vcc, v48, 64                    // coord0.1: coord0 += d0*sg0*VW + vc0
GLOBAL_OFFSET_C 120, 54, 49, sgprWorkGroup2, 56
v_mov_b32 v56, v120                                // temp store offset 0
v_mov_b32 v57, v121                                // temp store offset 1
_v_add_co_u32 v120, vcc, v52, v56                  // addrVgpr = C + index*bytes (lo)
_v_addc_co_u32 v121, vcc, v53, v57, vcc            // addrVgpr = C + index*bytes (hi)
_global_load_b32 v119, v[120:121], off, offset:0   // load C for beta calc
GLOBAL_OFFSET_D 120, 54, 49, sgprWorkGroup2, 56
v_mov_b32 v56, v120                                // temp store offset 0
v_mov_b32 v57, v121                                // temp store offset 1
_v_add_co_u32 v120, vcc, v50, v56                  // addrVgpr = D + index*bytes (lo)
_v_addc_co_u32 v121, vcc, v51, v57, vcc            // addrVgpr = D + index*bytes (hi)
/* (d1,vc1,d0,vc0)=(5,1,0,0) */
_v_add_co_u32 v49, vcc, v49, 1                     // coord1.1: coord1Vgpr += d1*sg1*VW + vc1
GLOBAL_OFFSET_C 124, 48, 49, sgprWorkGroup2, 56
v_mov_b32 v56, v124                                // temp store offset 0
v_mov_b32 v57, v125                                // temp store offset 1
_v_add_co_u32 v124, vcc, v52, v56                  // addrVgpr = C + index*bytes (lo)
_v_addc_co_u32 v125, vcc, v53, v57, vcc            // addrVgpr = C + index*bytes (hi)
_global_load_b32 v123, v[124:125], off, offset:0   // load C for beta calc
GLOBAL_OFFSET_D 124, 48, 49, sgprWorkGroup2, 56
v_mov_b32 v56, v124                                // temp store offset 0
v_mov_b32 v57, v125                                // temp store offset 1
_v_add_co_u32 v124, vcc, v50, v56                  // addrVgpr = D + index*bytes (lo)
_v_addc_co_u32 v125, vcc, v51, v57, vcc            // addrVgpr = D + index*bytes (hi)
/* (d1,vc1,d0,vc0)=(5,1,1,0) */
_v_add_co_u32 v54, vcc, v48, 64                    // coord0.1: coord0 += d0*sg0*VW + vc0
GLOBAL_OFFSET_C 132, 54, 49, sgprWorkGroup2, 56
v_mov_b32 v56, v132                                // temp store offset 0
v_mov_b32 v57, v133                                // temp store offset 1
_v_add_co_u32 v132, vcc, v52, v56                  // addrVgpr = C + index*bytes (lo)
_v_addc_co_u32 v133, vcc, v53, v57, vcc            // addrVgpr = C + index*bytes (hi)
_global_load_b32 v127, v[132:133], off, offset:0   // load C for beta calc
GLOBAL_OFFSET_D 132, 54, 49, sgprWorkGroup2, 56
v_mov_b32 v56, v132                                // temp store offset 0
v_mov_b32 v57, v133                                // temp store offset 1
_v_add_co_u32 v132, vcc, v50, v56                  // addrVgpr = D + index*bytes (lo)
_v_addc_co_u32 v133, vcc, v51, v57, vcc            // addrVgpr = D + index*bytes (hi)
/* (d1,vc1,d0,vc0)=(5,2,0,0) */
_v_add_co_u32 v49, vcc, v49, 1                     // coord1.1: coord1Vgpr += d1*sg1*VW + vc1
	;; [unrolled: 26-line block ×3, first 2 shown]
GLOBAL_OFFSET_C 142, 48, 49, sgprWorkGroup2, 56
v_mov_b32 v56, v142                                // temp store offset 0
v_mov_b32 v57, v143                                // temp store offset 1
_v_add_co_u32 v142, vcc, v52, v56                  // addrVgpr = C + index*bytes (lo)
_v_addc_co_u32 v143, vcc, v53, v57, vcc            // addrVgpr = C + index*bytes (hi)
_global_load_b32 v144, v[142:143], off, offset:0   // load C for beta calc
GLOBAL_OFFSET_D 142, 48, 49, sgprWorkGroup2, 56
v_mov_b32 v56, v142                                // temp store offset 0
v_mov_b32 v57, v143                                // temp store offset 1
_v_add_co_u32 v142, vcc, v50, v56                  // addrVgpr = D + index*bytes (lo)
_v_addc_co_u32 v143, vcc, v51, v57, vcc            // addrVgpr = D + index*bytes (hi)
/* (d1,vc1,d0,vc0)=(5,3,1,0) */
_v_add_co_u32 v54, vcc, v48, 64                    // coord0.1: coord0 += d0*sg0*VW + vc0
GLOBAL_OFFSET_C 146, 54, 49, sgprWorkGroup2, 56
v_mov_b32 v56, v146                                // temp store offset 0
v_mov_b32 v57, v147                                // temp store offset 1
_v_add_co_u32 v146, vcc, v52, v56                  // addrVgpr = C + index*bytes (lo)
_v_addc_co_u32 v147, vcc, v53, v57, vcc            // addrVgpr = C + index*bytes (hi)
_global_load_b32 v148, v[146:147], off, offset:0   // load C for beta calc
GLOBAL_OFFSET_D 146, 54, 49, sgprWorkGroup2, 56
v_mov_b32 v56, v146                                // temp store offset 0
v_mov_b32 v57, v147                                // temp store offset 1
_v_add_co_u32 v146, vcc, v50, v56                  // addrVgpr = D + index*bytes (lo)
_v_addc_co_u32 v147, vcc, v51, v57, vcc            // addrVgpr = D + index*bytes (hi)

/* rC *= alpha batchElements=[(3, 0, 1, 0), (3, 1, 1, 0), (3, 0, 2, 0), (3, 1, 2, 0), (3, 0, 3, 0), (3, 1, 3, 0), (4, 0, 0, 0), (4, 1, 0, 0), (4, 0, 1, 0), (4, 1, 1, 0), (4, 0, 2, 0), (4, 1, 2, 0), (4, 0, 3, 0), (4, 1, 3, 0), (5, 0, 0, 0), (5, 1, 0, 0), (5, 0, 1, 0), (5, 1, 1, 0), (5, 0, 2, 0), (5, 1, 2, 0), (5, 0, 3, 0), (5, 1, 3, 0)] */
v_mul_f32 v[vgprValuC+62], s[sgprAlpha], v[vgprValuC+25] // Multiply MI out reg with alpha
v_mul_f32 v[vgprValuC+66], s[sgprAlpha], v[vgprValuC+29] // Multiply MI out reg with alpha
	;; [unrolled: 1-line block ×22, first 2 shown]
s_waitcnt vmcnt(0)                                 // wait C

/* apply mask, calc new C and issue writes */
_v_mac_f32 v[vgprValuC+62], v59, s[sgprBeta]       // finalSum = sum*alpha + C*beta
_global_store_b32 v[60:61], v62, off               // store D
_v_mac_f32 v[vgprValuC+66], v63, s[sgprBeta]       // finalSum = sum*alpha + C*beta
_global_store_b32 v[64:65], v66, off               // store D
	;; [unrolled: 2-line block ×10, first 2 shown]
_v_mac_f32 v[vgprValuC+102], v99, s[sgprBeta]      // finalSum = sum*alpha + C*beta
_global_store_b32 v[100:101], v102, off            // store D
_v_mac_f32 v[vgprValuC+106], v103, s[sgprBeta]     // finalSum = sum*alpha + C*beta
_global_store_b32 v[104:105], v106, off            // store D
_v_mac_f32 v[vgprValuC+110], v107, s[sgprBeta]     // finalSum = sum*alpha + C*beta
	;; [unrolled: 2-line block ×11, first 2 shown]
_global_store_b32 v[146:147], v149, off            // store D
s_nop 0                                            // 1 wait state required when next inst writes vgprs held by previous dwordx4 store inst
s_branch label_GW_End_32                           // jump to end
GW_B1_E1_31:

/* edge=1, allocate 56 sgpr. perBatchTmpS=4 perBatchMaskS=0 perElementMaskS=2 elementsPerBatch=26 */
/* optSingleColVgpr=0 optSharedColVgpr=0 optSGPRUsage=None optSrdIncForRow=0 */

/******************************************/
/* Global Write Alpha Beta Edge Batch #0 (d1,d0,vc1,vc0) = */
/*    (0,0,0,0:vw1); (0,1,0,0:vw1); (0,0,1,0:vw1); (0,1,1,0:vw1); (0,0,2,0:vw1); (0,1,2,0:vw1); (0,0,3,0:vw1); (0,1,3,0:vw1); (1,0,0,0:vw1); (1,1,0,0:vw1); (1,0,1,0:vw1); (1,1,1,0:vw1); (1,0,2,0:vw1); (1,1,2,0:vw1); (1,0,3,0:vw1); (1,1,3,0:vw1); (2,0,0,0:vw1); (2,1,0,0:vw1); (2,0,1,0:vw1); (2,1,1,0:vw1); (2,0,2,0:vw1); (2,1,2,0:vw1); (2,0,3,0:vw1); (2,1,3,0:vw1); (3,0,0,0:vw1); (3,1,0,0:vw1) */
/******************************************/

/* calc coords, apply mask, and issue loads (if necessary) */
/* (d1,vc1,d0,vc0)=(0,0,0,0) */
GLOBAL_OFFSET_C 60, 48, 49, sgprWorkGroup2, 56
v_mov_b32 v56, v60                                 // temp store offset 0
v_mov_b32 v57, v61                                 // temp store offset 1
v_cmp_lt_u32 s[36:37], v48, s[sgprSizesFree+0]     // coord0 < size0
v_cmp_lt_u32 s[38:39], v49, s[sgprSizesFree+1]     // coord1 < size1
s_and_b64 s[40:41], s[36:37], s[38:39]             // in0 && in1
s_mov_b64 exec, s[40:41]                           // sgprs -> exec
_v_add_co_u32 v60, vcc, v52, v56                   // addrVgpr = C + index*bytes (lo)
_v_addc_co_u32 v61, vcc, v53, v57, vcc             // addrVgpr = C + index*bytes (hi)
_global_load_b32 v59, v[60:61], off, offset:0      // load C for beta calc
GLOBAL_OFFSET_D 60, 48, 49, sgprWorkGroup2, 56
v_mov_b32 v56, v60                                 // temp store offset 0
v_mov_b32 v57, v61                                 // temp store offset 1
v_cmp_lt_u32 s[36:37], v48, s[sgprSizesFree+0]     // coord0 < size0
v_cmp_lt_u32 s[38:39], v49, s[sgprSizesFree+1]     // coord1 < size1
s_and_b64 s[40:41], s[36:37], s[38:39]             // in0 && in1
s_mov_b64 exec, s[40:41]                           // sgprs -> exec
_v_add_co_u32 v60, vcc, v50, v56                   // addrVgpr = D + index*bytes (lo)
_v_addc_co_u32 v61, vcc, v51, v57, vcc             // addrVgpr = D + index*bytes (hi)
s_mov_b64 exec, -1                                 // full mask -1 -> exec
/* (d1,vc1,d0,vc0)=(0,0,1,0) */
_v_add_co_u32 v54, vcc, v48, 64                    // coord0.1: coord0 += d0*sg0*VW + vc0
GLOBAL_OFFSET_C 64, 54, 49, sgprWorkGroup2, 56
v_mov_b32 v56, v64                                 // temp store offset 0
v_mov_b32 v57, v65                                 // temp store offset 1
v_cmp_lt_u32 s[36:37], v54, s[sgprSizesFree+0]     // coord0 < size0
v_cmp_lt_u32 s[38:39], v49, s[sgprSizesFree+1]     // coord1 < size1
s_and_b64 s[42:43], s[36:37], s[38:39]             // in0 && in1
s_mov_b64 exec, s[42:43]                           // sgprs -> exec
_v_add_co_u32 v64, vcc, v52, v56                   // addrVgpr = C + index*bytes (lo)
_v_addc_co_u32 v65, vcc, v53, v57, vcc             // addrVgpr = C + index*bytes (hi)
_global_load_b32 v63, v[64:65], off, offset:0      // load C for beta calc
GLOBAL_OFFSET_D 64, 54, 49, sgprWorkGroup2, 56
v_mov_b32 v56, v64                                 // temp store offset 0
v_mov_b32 v57, v65                                 // temp store offset 1
v_cmp_lt_u32 s[36:37], v54, s[sgprSizesFree+0]     // coord0 < size0
v_cmp_lt_u32 s[38:39], v49, s[sgprSizesFree+1]     // coord1 < size1
s_and_b64 s[42:43], s[36:37], s[38:39]             // in0 && in1
s_mov_b64 exec, s[42:43]                           // sgprs -> exec
_v_add_co_u32 v64, vcc, v50, v56                   // addrVgpr = D + index*bytes (lo)
_v_addc_co_u32 v65, vcc, v51, v57, vcc             // addrVgpr = D + index*bytes (hi)
s_mov_b64 exec, -1                                 // full mask -1 -> exec
/* (d1,vc1,d0,vc0)=(0,1,0,0) */
_v_add_co_u32 v49, vcc, v49, 1                     // coord1.1: coord1Vgpr += d1*sg1*VW + vc1
GLOBAL_OFFSET_C 68, 48, 49, sgprWorkGroup2, 56
v_mov_b32 v56, v68                                 // temp store offset 0
v_mov_b32 v57, v69                                 // temp store offset 1
v_cmp_lt_u32 s[36:37], v48, s[sgprSizesFree+0]     // coord0 < size0
v_cmp_lt_u32 s[38:39], v49, s[sgprSizesFree+1]     // coord1 < size1
s_and_b64 s[44:45], s[36:37], s[38:39]             // in0 && in1
s_mov_b64 exec, s[44:45]                           // sgprs -> exec
_v_add_co_u32 v68, vcc, v52, v56                   // addrVgpr = C + index*bytes (lo)
_v_addc_co_u32 v69, vcc, v53, v57, vcc             // addrVgpr = C + index*bytes (hi)
_global_load_b32 v67, v[68:69], off, offset:0      // load C for beta calc
GLOBAL_OFFSET_D 68, 48, 49, sgprWorkGroup2, 56
v_mov_b32 v56, v68                                 // temp store offset 0
v_mov_b32 v57, v69                                 // temp store offset 1
v_cmp_lt_u32 s[36:37], v48, s[sgprSizesFree+0]     // coord0 < size0
v_cmp_lt_u32 s[38:39], v49, s[sgprSizesFree+1]     // coord1 < size1
s_and_b64 s[44:45], s[36:37], s[38:39]             // in0 && in1
s_mov_b64 exec, s[44:45]                           // sgprs -> exec
_v_add_co_u32 v68, vcc, v50, v56                   // addrVgpr = D + index*bytes (lo)
_v_addc_co_u32 v69, vcc, v51, v57, vcc             // addrVgpr = D + index*bytes (hi)
s_mov_b64 exec, -1                                 // full mask -1 -> exec
/* (d1,vc1,d0,vc0)=(0,1,1,0) */
_v_add_co_u32 v54, vcc, v48, 64                    // coord0.1: coord0 += d0*sg0*VW + vc0
GLOBAL_OFFSET_C 72, 54, 49, sgprWorkGroup2, 56
v_mov_b32 v56, v72                                 // temp store offset 0
v_mov_b32 v57, v73                                 // temp store offset 1
v_cmp_lt_u32 s[36:37], v54, s[sgprSizesFree+0]     // coord0 < size0
v_cmp_lt_u32 s[38:39], v49, s[sgprSizesFree+1]     // coord1 < size1
s_and_b64 s[46:47], s[36:37], s[38:39]             // in0 && in1
s_mov_b64 exec, s[46:47]                           // sgprs -> exec
_v_add_co_u32 v72, vcc, v52, v56                   // addrVgpr = C + index*bytes (lo)
_v_addc_co_u32 v73, vcc, v53, v57, vcc             // addrVgpr = C + index*bytes (hi)
_global_load_b32 v71, v[72:73], off, offset:0      // load C for beta calc
GLOBAL_OFFSET_D 72, 54, 49, sgprWorkGroup2, 56
v_mov_b32 v56, v72                                 // temp store offset 0
v_mov_b32 v57, v73                                 // temp store offset 1
v_cmp_lt_u32 s[36:37], v54, s[sgprSizesFree+0]     // coord0 < size0
v_cmp_lt_u32 s[38:39], v49, s[sgprSizesFree+1]     // coord1 < size1
s_and_b64 s[46:47], s[36:37], s[38:39]             // in0 && in1
s_mov_b64 exec, s[46:47]                           // sgprs -> exec
_v_add_co_u32 v72, vcc, v50, v56                   // addrVgpr = D + index*bytes (lo)
_v_addc_co_u32 v73, vcc, v51, v57, vcc             // addrVgpr = D + index*bytes (hi)
s_mov_b64 exec, -1                                 // full mask -1 -> exec
/* (d1,vc1,d0,vc0)=(0,2,0,0) */
_v_add_co_u32 v49, vcc, v49, 1                     // coord1.1: coord1Vgpr += d1*sg1*VW + vc1
	;; [unrolled: 44-line block ×3, first 2 shown]
GLOBAL_OFFSET_C 84, 48, 49, sgprWorkGroup2, 56
v_mov_b32 v56, v84                                 // temp store offset 0
v_mov_b32 v57, v85                                 // temp store offset 1
v_cmp_lt_u32 s[36:37], v48, s[sgprSizesFree+0]     // coord0 < size0
v_cmp_lt_u32 s[38:39], v49, s[sgprSizesFree+1]     // coord1 < size1
s_and_b64 s[52:53], s[36:37], s[38:39]             // in0 && in1
s_mov_b64 exec, s[52:53]                           // sgprs -> exec
_v_add_co_u32 v84, vcc, v52, v56                   // addrVgpr = C + index*bytes (lo)
_v_addc_co_u32 v85, vcc, v53, v57, vcc             // addrVgpr = C + index*bytes (hi)
_global_load_b32 v83, v[84:85], off, offset:0      // load C for beta calc
GLOBAL_OFFSET_D 84, 48, 49, sgprWorkGroup2, 56
v_mov_b32 v56, v84                                 // temp store offset 0
v_mov_b32 v57, v85                                 // temp store offset 1
v_cmp_lt_u32 s[36:37], v48, s[sgprSizesFree+0]     // coord0 < size0
v_cmp_lt_u32 s[38:39], v49, s[sgprSizesFree+1]     // coord1 < size1
s_and_b64 s[52:53], s[36:37], s[38:39]             // in0 && in1
s_mov_b64 exec, s[52:53]                           // sgprs -> exec
_v_add_co_u32 v84, vcc, v50, v56                   // addrVgpr = D + index*bytes (lo)
_v_addc_co_u32 v85, vcc, v51, v57, vcc             // addrVgpr = D + index*bytes (hi)
s_mov_b64 exec, -1                                 // full mask -1 -> exec
/* (d1,vc1,d0,vc0)=(0,3,1,0) */
_v_add_co_u32 v54, vcc, v48, 64                    // coord0.1: coord0 += d0*sg0*VW + vc0
GLOBAL_OFFSET_C 88, 54, 49, sgprWorkGroup2, 56
v_mov_b32 v56, v88                                 // temp store offset 0
v_mov_b32 v57, v89                                 // temp store offset 1
v_cmp_lt_u32 s[36:37], v54, s[sgprSizesFree+0]     // coord0 < size0
v_cmp_lt_u32 s[38:39], v49, s[sgprSizesFree+1]     // coord1 < size1
s_and_b64 s[54:55], s[36:37], s[38:39]             // in0 && in1
s_mov_b64 exec, s[54:55]                           // sgprs -> exec
_v_add_co_u32 v88, vcc, v52, v56                   // addrVgpr = C + index*bytes (lo)
_v_addc_co_u32 v89, vcc, v53, v57, vcc             // addrVgpr = C + index*bytes (hi)
_global_load_b32 v87, v[88:89], off, offset:0      // load C for beta calc
GLOBAL_OFFSET_D 88, 54, 49, sgprWorkGroup2, 56
v_mov_b32 v56, v88                                 // temp store offset 0
v_mov_b32 v57, v89                                 // temp store offset 1
v_cmp_lt_u32 s[36:37], v54, s[sgprSizesFree+0]     // coord0 < size0
v_cmp_lt_u32 s[38:39], v49, s[sgprSizesFree+1]     // coord1 < size1
s_and_b64 s[54:55], s[36:37], s[38:39]             // in0 && in1
s_mov_b64 exec, s[54:55]                           // sgprs -> exec
_v_add_co_u32 v88, vcc, v50, v56                   // addrVgpr = D + index*bytes (lo)
_v_addc_co_u32 v89, vcc, v51, v57, vcc             // addrVgpr = D + index*bytes (hi)
s_mov_b64 exec, -1                                 // full mask -1 -> exec
/* (d1,vc1,d0,vc0)=(1,0,0,0) */
_v_add_co_u32 v49, vcc, v49, 13                    // coord1.1: coord1Vgpr += d1*sg1*VW + vc1
GLOBAL_OFFSET_C 92, 48, 49, sgprWorkGroup2, 56
v_mov_b32 v56, v92                                 // temp store offset 0
v_mov_b32 v57, v93                                 // temp store offset 1
v_cmp_lt_u32 s[36:37], v48, s[sgprSizesFree+0]     // coord0 < size0
v_cmp_lt_u32 s[38:39], v49, s[sgprSizesFree+1]     // coord1 < size1
s_and_b64 s[56:57], s[36:37], s[38:39]             // in0 && in1
s_mov_b64 exec, s[56:57]                           // sgprs -> exec
_v_add_co_u32 v92, vcc, v52, v56                   // addrVgpr = C + index*bytes (lo)
_v_addc_co_u32 v93, vcc, v53, v57, vcc             // addrVgpr = C + index*bytes (hi)
_global_load_b32 v91, v[92:93], off, offset:0      // load C for beta calc
GLOBAL_OFFSET_D 92, 48, 49, sgprWorkGroup2, 56
v_mov_b32 v56, v92                                 // temp store offset 0
v_mov_b32 v57, v93                                 // temp store offset 1
v_cmp_lt_u32 s[36:37], v48, s[sgprSizesFree+0]     // coord0 < size0
v_cmp_lt_u32 s[38:39], v49, s[sgprSizesFree+1]     // coord1 < size1
s_and_b64 s[56:57], s[36:37], s[38:39]             // in0 && in1
s_mov_b64 exec, s[56:57]                           // sgprs -> exec
_v_add_co_u32 v92, vcc, v50, v56                   // addrVgpr = D + index*bytes (lo)
_v_addc_co_u32 v93, vcc, v51, v57, vcc             // addrVgpr = D + index*bytes (hi)
s_mov_b64 exec, -1                                 // full mask -1 -> exec
/* (d1,vc1,d0,vc0)=(1,0,1,0) */
_v_add_co_u32 v54, vcc, v48, 64                    // coord0.1: coord0 += d0*sg0*VW + vc0
GLOBAL_OFFSET_C 96, 54, 49, sgprWorkGroup2, 56
v_mov_b32 v56, v96                                 // temp store offset 0
v_mov_b32 v57, v97                                 // temp store offset 1
v_cmp_lt_u32 s[36:37], v54, s[sgprSizesFree+0]     // coord0 < size0
v_cmp_lt_u32 s[38:39], v49, s[sgprSizesFree+1]     // coord1 < size1
s_and_b64 s[58:59], s[36:37], s[38:39]             // in0 && in1
s_mov_b64 exec, s[58:59]                           // sgprs -> exec
_v_add_co_u32 v96, vcc, v52, v56                   // addrVgpr = C + index*bytes (lo)
_v_addc_co_u32 v97, vcc, v53, v57, vcc             // addrVgpr = C + index*bytes (hi)
_global_load_b32 v95, v[96:97], off, offset:0      // load C for beta calc
GLOBAL_OFFSET_D 96, 54, 49, sgprWorkGroup2, 56
v_mov_b32 v56, v96                                 // temp store offset 0
v_mov_b32 v57, v97                                 // temp store offset 1
v_cmp_lt_u32 s[36:37], v54, s[sgprSizesFree+0]     // coord0 < size0
v_cmp_lt_u32 s[38:39], v49, s[sgprSizesFree+1]     // coord1 < size1
s_and_b64 s[58:59], s[36:37], s[38:39]             // in0 && in1
s_mov_b64 exec, s[58:59]                           // sgprs -> exec
_v_add_co_u32 v96, vcc, v50, v56                   // addrVgpr = D + index*bytes (lo)
_v_addc_co_u32 v97, vcc, v51, v57, vcc             // addrVgpr = D + index*bytes (hi)
s_mov_b64 exec, -1                                 // full mask -1 -> exec
/* (d1,vc1,d0,vc0)=(1,1,0,0) */
_v_add_co_u32 v49, vcc, v49, 1                     // coord1.1: coord1Vgpr += d1*sg1*VW + vc1
GLOBAL_OFFSET_C 100, 48, 49, sgprWorkGroup2, 56
v_mov_b32 v56, v100                                // temp store offset 0
v_mov_b32 v57, v101                                // temp store offset 1
v_cmp_lt_u32 s[36:37], v48, s[sgprSizesFree+0]     // coord0 < size0
v_cmp_lt_u32 s[38:39], v49, s[sgprSizesFree+1]     // coord1 < size1
s_and_b64 s[60:61], s[36:37], s[38:39]             // in0 && in1
s_mov_b64 exec, s[60:61]                           // sgprs -> exec
_v_add_co_u32 v100, vcc, v52, v56                  // addrVgpr = C + index*bytes (lo)
_v_addc_co_u32 v101, vcc, v53, v57, vcc            // addrVgpr = C + index*bytes (hi)
_global_load_b32 v99, v[100:101], off, offset:0    // load C for beta calc
GLOBAL_OFFSET_D 100, 48, 49, sgprWorkGroup2, 56
v_mov_b32 v56, v100                                // temp store offset 0
v_mov_b32 v57, v101                                // temp store offset 1
v_cmp_lt_u32 s[36:37], v48, s[sgprSizesFree+0]     // coord0 < size0
v_cmp_lt_u32 s[38:39], v49, s[sgprSizesFree+1]     // coord1 < size1
s_and_b64 s[60:61], s[36:37], s[38:39]             // in0 && in1
s_mov_b64 exec, s[60:61]                           // sgprs -> exec
_v_add_co_u32 v100, vcc, v50, v56                  // addrVgpr = D + index*bytes (lo)
_v_addc_co_u32 v101, vcc, v51, v57, vcc            // addrVgpr = D + index*bytes (hi)
s_mov_b64 exec, -1                                 // full mask -1 -> exec
/* (d1,vc1,d0,vc0)=(1,1,1,0) */
_v_add_co_u32 v54, vcc, v48, 64                    // coord0.1: coord0 += d0*sg0*VW + vc0
GLOBAL_OFFSET_C 104, 54, 49, sgprWorkGroup2, 56
v_mov_b32 v56, v104                                // temp store offset 0
v_mov_b32 v57, v105                                // temp store offset 1
v_cmp_lt_u32 s[36:37], v54, s[sgprSizesFree+0]     // coord0 < size0
v_cmp_lt_u32 s[38:39], v49, s[sgprSizesFree+1]     // coord1 < size1
s_and_b64 s[62:63], s[36:37], s[38:39]             // in0 && in1
s_mov_b64 exec, s[62:63]                           // sgprs -> exec
_v_add_co_u32 v104, vcc, v52, v56                  // addrVgpr = C + index*bytes (lo)
_v_addc_co_u32 v105, vcc, v53, v57, vcc            // addrVgpr = C + index*bytes (hi)
_global_load_b32 v103, v[104:105], off, offset:0   // load C for beta calc
GLOBAL_OFFSET_D 104, 54, 49, sgprWorkGroup2, 56
v_mov_b32 v56, v104                                // temp store offset 0
v_mov_b32 v57, v105                                // temp store offset 1
v_cmp_lt_u32 s[36:37], v54, s[sgprSizesFree+0]     // coord0 < size0
v_cmp_lt_u32 s[38:39], v49, s[sgprSizesFree+1]     // coord1 < size1
s_and_b64 s[62:63], s[36:37], s[38:39]             // in0 && in1
s_mov_b64 exec, s[62:63]                           // sgprs -> exec
_v_add_co_u32 v104, vcc, v50, v56                  // addrVgpr = D + index*bytes (lo)
_v_addc_co_u32 v105, vcc, v51, v57, vcc            // addrVgpr = D + index*bytes (hi)
s_mov_b64 exec, -1                                 // full mask -1 -> exec
/* (d1,vc1,d0,vc0)=(1,2,0,0) */
_v_add_co_u32 v49, vcc, v49, 1                     // coord1.1: coord1Vgpr += d1*sg1*VW + vc1
GLOBAL_OFFSET_C 108, 48, 49, sgprWorkGroup2, 56
v_mov_b32 v56, v108                                // temp store offset 0
v_mov_b32 v57, v109                                // temp store offset 1
v_cmp_lt_u32 s[36:37], v48, s[sgprSizesFree+0]     // coord0 < size0
v_cmp_lt_u32 s[38:39], v49, s[sgprSizesFree+1]     // coord1 < size1
s_and_b64 s[64:65], s[36:37], s[38:39]             // in0 && in1
s_mov_b64 exec, s[64:65]                           // sgprs -> exec
_v_add_co_u32 v108, vcc, v52, v56                  // addrVgpr = C + index*bytes (lo)
_v_addc_co_u32 v109, vcc, v53, v57, vcc            // addrVgpr = C + index*bytes (hi)
_global_load_b32 v107, v[108:109], off, offset:0   // load C for beta calc
GLOBAL_OFFSET_D 108, 48, 49, sgprWorkGroup2, 56
v_mov_b32 v56, v108                                // temp store offset 0
v_mov_b32 v57, v109                                // temp store offset 1
v_cmp_lt_u32 s[36:37], v48, s[sgprSizesFree+0]     // coord0 < size0
v_cmp_lt_u32 s[38:39], v49, s[sgprSizesFree+1]     // coord1 < size1
s_and_b64 s[64:65], s[36:37], s[38:39]             // in0 && in1
s_mov_b64 exec, s[64:65]                           // sgprs -> exec
_v_add_co_u32 v108, vcc, v50, v56                  // addrVgpr = D + index*bytes (lo)
_v_addc_co_u32 v109, vcc, v51, v57, vcc            // addrVgpr = D + index*bytes (hi)
s_mov_b64 exec, -1                                 // full mask -1 -> exec
/* (d1,vc1,d0,vc0)=(1,2,1,0) */
_v_add_co_u32 v54, vcc, v48, 64                    // coord0.1: coord0 += d0*sg0*VW + vc0
GLOBAL_OFFSET_C 112, 54, 49, sgprWorkGroup2, 56
v_mov_b32 v56, v112                                // temp store offset 0
v_mov_b32 v57, v113                                // temp store offset 1
v_cmp_lt_u32 s[36:37], v54, s[sgprSizesFree+0]     // coord0 < size0
v_cmp_lt_u32 s[38:39], v49, s[sgprSizesFree+1]     // coord1 < size1
s_and_b64 s[66:67], s[36:37], s[38:39]             // in0 && in1
s_mov_b64 exec, s[66:67]                           // sgprs -> exec
_v_add_co_u32 v112, vcc, v52, v56                  // addrVgpr = C + index*bytes (lo)
_v_addc_co_u32 v113, vcc, v53, v57, vcc            // addrVgpr = C + index*bytes (hi)
_global_load_b32 v111, v[112:113], off, offset:0   // load C for beta calc
GLOBAL_OFFSET_D 112, 54, 49, sgprWorkGroup2, 56
v_mov_b32 v56, v112                                // temp store offset 0
v_mov_b32 v57, v113                                // temp store offset 1
v_cmp_lt_u32 s[36:37], v54, s[sgprSizesFree+0]     // coord0 < size0
v_cmp_lt_u32 s[38:39], v49, s[sgprSizesFree+1]     // coord1 < size1
s_and_b64 s[66:67], s[36:37], s[38:39]             // in0 && in1
s_mov_b64 exec, s[66:67]                           // sgprs -> exec
_v_add_co_u32 v112, vcc, v50, v56                  // addrVgpr = D + index*bytes (lo)
_v_addc_co_u32 v113, vcc, v51, v57, vcc            // addrVgpr = D + index*bytes (hi)
s_mov_b64 exec, -1                                 // full mask -1 -> exec
/* (d1,vc1,d0,vc0)=(1,3,0,0) */
_v_add_co_u32 v49, vcc, v49, 1                     // coord1.1: coord1Vgpr += d1*sg1*VW + vc1
GLOBAL_OFFSET_C 116, 48, 49, sgprWorkGroup2, 56
v_mov_b32 v56, v116                                // temp store offset 0
v_mov_b32 v57, v117                                // temp store offset 1
v_cmp_lt_u32 s[36:37], v48, s[sgprSizesFree+0]     // coord0 < size0
v_cmp_lt_u32 s[38:39], v49, s[sgprSizesFree+1]     // coord1 < size1
s_and_b64 s[68:69], s[36:37], s[38:39]             // in0 && in1
s_mov_b64 exec, s[68:69]                           // sgprs -> exec
_v_add_co_u32 v116, vcc, v52, v56                  // addrVgpr = C + index*bytes (lo)
_v_addc_co_u32 v117, vcc, v53, v57, vcc            // addrVgpr = C + index*bytes (hi)
_global_load_b32 v115, v[116:117], off, offset:0   // load C for beta calc
GLOBAL_OFFSET_D 116, 48, 49, sgprWorkGroup2, 56
v_mov_b32 v56, v116                                // temp store offset 0
v_mov_b32 v57, v117                                // temp store offset 1
v_cmp_lt_u32 s[36:37], v48, s[sgprSizesFree+0]     // coord0 < size0
v_cmp_lt_u32 s[38:39], v49, s[sgprSizesFree+1]     // coord1 < size1
s_and_b64 s[68:69], s[36:37], s[38:39]             // in0 && in1
s_mov_b64 exec, s[68:69]                           // sgprs -> exec
_v_add_co_u32 v116, vcc, v50, v56                  // addrVgpr = D + index*bytes (lo)
_v_addc_co_u32 v117, vcc, v51, v57, vcc            // addrVgpr = D + index*bytes (hi)
s_mov_b64 exec, -1                                 // full mask -1 -> exec
/* (d1,vc1,d0,vc0)=(1,3,1,0) */
_v_add_co_u32 v54, vcc, v48, 64                    // coord0.1: coord0 += d0*sg0*VW + vc0
GLOBAL_OFFSET_C 120, 54, 49, sgprWorkGroup2, 56
v_mov_b32 v56, v120                                // temp store offset 0
v_mov_b32 v57, v121                                // temp store offset 1
v_cmp_lt_u32 s[36:37], v54, s[sgprSizesFree+0]     // coord0 < size0
v_cmp_lt_u32 s[38:39], v49, s[sgprSizesFree+1]     // coord1 < size1
s_and_b64 s[70:71], s[36:37], s[38:39]             // in0 && in1
s_mov_b64 exec, s[70:71]                           // sgprs -> exec
_v_add_co_u32 v120, vcc, v52, v56                  // addrVgpr = C + index*bytes (lo)
_v_addc_co_u32 v121, vcc, v53, v57, vcc            // addrVgpr = C + index*bytes (hi)
_global_load_b32 v119, v[120:121], off, offset:0   // load C for beta calc
GLOBAL_OFFSET_D 120, 54, 49, sgprWorkGroup2, 56
v_mov_b32 v56, v120                                // temp store offset 0
v_mov_b32 v57, v121                                // temp store offset 1
v_cmp_lt_u32 s[36:37], v54, s[sgprSizesFree+0]     // coord0 < size0
v_cmp_lt_u32 s[38:39], v49, s[sgprSizesFree+1]     // coord1 < size1
s_and_b64 s[70:71], s[36:37], s[38:39]             // in0 && in1
s_mov_b64 exec, s[70:71]                           // sgprs -> exec
_v_add_co_u32 v120, vcc, v50, v56                  // addrVgpr = D + index*bytes (lo)
_v_addc_co_u32 v121, vcc, v51, v57, vcc            // addrVgpr = D + index*bytes (hi)
s_mov_b64 exec, -1                                 // full mask -1 -> exec
/* (d1,vc1,d0,vc0)=(2,0,0,0) */
_v_add_co_u32 v49, vcc, v49, 13                    // coord1.1: coord1Vgpr += d1*sg1*VW + vc1
GLOBAL_OFFSET_C 124, 48, 49, sgprWorkGroup2, 56
v_mov_b32 v56, v124                                // temp store offset 0
v_mov_b32 v57, v125                                // temp store offset 1
v_cmp_lt_u32 s[36:37], v48, s[sgprSizesFree+0]     // coord0 < size0
v_cmp_lt_u32 s[38:39], v49, s[sgprSizesFree+1]     // coord1 < size1
s_and_b64 s[72:73], s[36:37], s[38:39]             // in0 && in1
s_mov_b64 exec, s[72:73]                           // sgprs -> exec
_v_add_co_u32 v124, vcc, v52, v56                  // addrVgpr = C + index*bytes (lo)
_v_addc_co_u32 v125, vcc, v53, v57, vcc            // addrVgpr = C + index*bytes (hi)
_global_load_b32 v123, v[124:125], off, offset:0   // load C for beta calc
GLOBAL_OFFSET_D 124, 48, 49, sgprWorkGroup2, 56
v_mov_b32 v56, v124                                // temp store offset 0
v_mov_b32 v57, v125                                // temp store offset 1
v_cmp_lt_u32 s[36:37], v48, s[sgprSizesFree+0]     // coord0 < size0
v_cmp_lt_u32 s[38:39], v49, s[sgprSizesFree+1]     // coord1 < size1
s_and_b64 s[72:73], s[36:37], s[38:39]             // in0 && in1
s_mov_b64 exec, s[72:73]                           // sgprs -> exec
_v_add_co_u32 v124, vcc, v50, v56                  // addrVgpr = D + index*bytes (lo)
_v_addc_co_u32 v125, vcc, v51, v57, vcc            // addrVgpr = D + index*bytes (hi)
s_mov_b64 exec, -1                                 // full mask -1 -> exec
/* (d1,vc1,d0,vc0)=(2,0,1,0) */
_v_add_co_u32 v54, vcc, v48, 64                    // coord0.1: coord0 += d0*sg0*VW + vc0
GLOBAL_OFFSET_C 132, 54, 49, sgprWorkGroup2, 56
v_mov_b32 v56, v132                                // temp store offset 0
v_mov_b32 v57, v133                                // temp store offset 1
v_cmp_lt_u32 s[36:37], v54, s[sgprSizesFree+0]     // coord0 < size0
v_cmp_lt_u32 s[38:39], v49, s[sgprSizesFree+1]     // coord1 < size1
s_and_b64 s[74:75], s[36:37], s[38:39]             // in0 && in1
s_mov_b64 exec, s[74:75]                           // sgprs -> exec
_v_add_co_u32 v132, vcc, v52, v56                  // addrVgpr = C + index*bytes (lo)
_v_addc_co_u32 v133, vcc, v53, v57, vcc            // addrVgpr = C + index*bytes (hi)
_global_load_b32 v127, v[132:133], off, offset:0   // load C for beta calc
GLOBAL_OFFSET_D 132, 54, 49, sgprWorkGroup2, 56
v_mov_b32 v56, v132                                // temp store offset 0
v_mov_b32 v57, v133                                // temp store offset 1
v_cmp_lt_u32 s[36:37], v54, s[sgprSizesFree+0]     // coord0 < size0
v_cmp_lt_u32 s[38:39], v49, s[sgprSizesFree+1]     // coord1 < size1
s_and_b64 s[74:75], s[36:37], s[38:39]             // in0 && in1
s_mov_b64 exec, s[74:75]                           // sgprs -> exec
_v_add_co_u32 v132, vcc, v50, v56                  // addrVgpr = D + index*bytes (lo)
_v_addc_co_u32 v133, vcc, v51, v57, vcc            // addrVgpr = D + index*bytes (hi)
s_mov_b64 exec, -1                                 // full mask -1 -> exec
/* (d1,vc1,d0,vc0)=(2,1,0,0) */
_v_add_co_u32 v49, vcc, v49, 1                     // coord1.1: coord1Vgpr += d1*sg1*VW + vc1
GLOBAL_OFFSET_C 134, 48, 49, sgprWorkGroup2, 56
v_mov_b32 v56, v134                                // temp store offset 0
v_mov_b32 v57, v135                                // temp store offset 1
v_cmp_lt_u32 s[36:37], v48, s[sgprSizesFree+0]     // coord0 < size0
v_cmp_lt_u32 s[38:39], v49, s[sgprSizesFree+1]     // coord1 < size1
s_and_b64 s[76:77], s[36:37], s[38:39]             // in0 && in1
s_mov_b64 exec, s[76:77]                           // sgprs -> exec
_v_add_co_u32 v134, vcc, v52, v56                  // addrVgpr = C + index*bytes (lo)
_v_addc_co_u32 v135, vcc, v53, v57, vcc            // addrVgpr = C + index*bytes (hi)
_global_load_b32 v136, v[134:135], off, offset:0   // load C for beta calc
GLOBAL_OFFSET_D 134, 48, 49, sgprWorkGroup2, 56
v_mov_b32 v56, v134                                // temp store offset 0
v_mov_b32 v57, v135                                // temp store offset 1
v_cmp_lt_u32 s[36:37], v48, s[sgprSizesFree+0]     // coord0 < size0
v_cmp_lt_u32 s[38:39], v49, s[sgprSizesFree+1]     // coord1 < size1
s_and_b64 s[76:77], s[36:37], s[38:39]             // in0 && in1
s_mov_b64 exec, s[76:77]                           // sgprs -> exec
_v_add_co_u32 v134, vcc, v50, v56                  // addrVgpr = D + index*bytes (lo)
_v_addc_co_u32 v135, vcc, v51, v57, vcc            // addrVgpr = D + index*bytes (hi)
s_mov_b64 exec, -1                                 // full mask -1 -> exec
/* (d1,vc1,d0,vc0)=(2,1,1,0) */
_v_add_co_u32 v54, vcc, v48, 64                    // coord0.1: coord0 += d0*sg0*VW + vc0
GLOBAL_OFFSET_C 138, 54, 49, sgprWorkGroup2, 56
v_mov_b32 v56, v138                                // temp store offset 0
v_mov_b32 v57, v139                                // temp store offset 1
v_cmp_lt_u32 s[36:37], v54, s[sgprSizesFree+0]     // coord0 < size0
v_cmp_lt_u32 s[38:39], v49, s[sgprSizesFree+1]     // coord1 < size1
s_and_b64 s[78:79], s[36:37], s[38:39]             // in0 && in1
s_mov_b64 exec, s[78:79]                           // sgprs -> exec
_v_add_co_u32 v138, vcc, v52, v56                  // addrVgpr = C + index*bytes (lo)
_v_addc_co_u32 v139, vcc, v53, v57, vcc            // addrVgpr = C + index*bytes (hi)
_global_load_b32 v140, v[138:139], off, offset:0   // load C for beta calc
GLOBAL_OFFSET_D 138, 54, 49, sgprWorkGroup2, 56
v_mov_b32 v56, v138                                // temp store offset 0
v_mov_b32 v57, v139                                // temp store offset 1
v_cmp_lt_u32 s[36:37], v54, s[sgprSizesFree+0]     // coord0 < size0
v_cmp_lt_u32 s[38:39], v49, s[sgprSizesFree+1]     // coord1 < size1
s_and_b64 s[78:79], s[36:37], s[38:39]             // in0 && in1
s_mov_b64 exec, s[78:79]                           // sgprs -> exec
_v_add_co_u32 v138, vcc, v50, v56                  // addrVgpr = D + index*bytes (lo)
_v_addc_co_u32 v139, vcc, v51, v57, vcc            // addrVgpr = D + index*bytes (hi)
s_mov_b64 exec, -1                                 // full mask -1 -> exec
/* (d1,vc1,d0,vc0)=(2,2,0,0) */
_v_add_co_u32 v49, vcc, v49, 1                     // coord1.1: coord1Vgpr += d1*sg1*VW + vc1
GLOBAL_OFFSET_C 142, 48, 49, sgprWorkGroup2, 56
v_mov_b32 v56, v142                                // temp store offset 0
v_mov_b32 v57, v143                                // temp store offset 1
v_cmp_lt_u32 s[36:37], v48, s[sgprSizesFree+0]     // coord0 < size0
v_cmp_lt_u32 s[38:39], v49, s[sgprSizesFree+1]     // coord1 < size1
s_and_b64 s[80:81], s[36:37], s[38:39]             // in0 && in1
s_mov_b64 exec, s[80:81]                           // sgprs -> exec
_v_add_co_u32 v142, vcc, v52, v56                  // addrVgpr = C + index*bytes (lo)
_v_addc_co_u32 v143, vcc, v53, v57, vcc            // addrVgpr = C + index*bytes (hi)
_global_load_b32 v144, v[142:143], off, offset:0   // load C for beta calc
GLOBAL_OFFSET_D 142, 48, 49, sgprWorkGroup2, 56
v_mov_b32 v56, v142                                // temp store offset 0
v_mov_b32 v57, v143                                // temp store offset 1
v_cmp_lt_u32 s[36:37], v48, s[sgprSizesFree+0]     // coord0 < size0
v_cmp_lt_u32 s[38:39], v49, s[sgprSizesFree+1]     // coord1 < size1
s_and_b64 s[80:81], s[36:37], s[38:39]             // in0 && in1
s_mov_b64 exec, s[80:81]                           // sgprs -> exec
_v_add_co_u32 v142, vcc, v50, v56                  // addrVgpr = D + index*bytes (lo)
_v_addc_co_u32 v143, vcc, v51, v57, vcc            // addrVgpr = D + index*bytes (hi)
s_mov_b64 exec, -1                                 // full mask -1 -> exec
/* (d1,vc1,d0,vc0)=(2,2,1,0) */
_v_add_co_u32 v54, vcc, v48, 64                    // coord0.1: coord0 += d0*sg0*VW + vc0
GLOBAL_OFFSET_C 146, 54, 49, sgprWorkGroup2, 56
v_mov_b32 v56, v146                                // temp store offset 0
v_mov_b32 v57, v147                                // temp store offset 1
v_cmp_lt_u32 s[36:37], v54, s[sgprSizesFree+0]     // coord0 < size0
v_cmp_lt_u32 s[38:39], v49, s[sgprSizesFree+1]     // coord1 < size1
s_and_b64 s[82:83], s[36:37], s[38:39]             // in0 && in1
s_mov_b64 exec, s[82:83]                           // sgprs -> exec
_v_add_co_u32 v146, vcc, v52, v56                  // addrVgpr = C + index*bytes (lo)
_v_addc_co_u32 v147, vcc, v53, v57, vcc            // addrVgpr = C + index*bytes (hi)
_global_load_b32 v148, v[146:147], off, offset:0   // load C for beta calc
GLOBAL_OFFSET_D 146, 54, 49, sgprWorkGroup2, 56
v_mov_b32 v56, v146                                // temp store offset 0
v_mov_b32 v57, v147                                // temp store offset 1
v_cmp_lt_u32 s[36:37], v54, s[sgprSizesFree+0]     // coord0 < size0
v_cmp_lt_u32 s[38:39], v49, s[sgprSizesFree+1]     // coord1 < size1
s_and_b64 s[82:83], s[36:37], s[38:39]             // in0 && in1
s_mov_b64 exec, s[82:83]                           // sgprs -> exec
_v_add_co_u32 v146, vcc, v50, v56                  // addrVgpr = D + index*bytes (lo)
_v_addc_co_u32 v147, vcc, v51, v57, vcc            // addrVgpr = D + index*bytes (hi)
s_mov_b64 exec, -1                                 // full mask -1 -> exec
/* (d1,vc1,d0,vc0)=(2,3,0,0) */
_v_add_co_u32 v49, vcc, v49, 1                     // coord1.1: coord1Vgpr += d1*sg1*VW + vc1
GLOBAL_OFFSET_C 150, 48, 49, sgprWorkGroup2, 56
v_mov_b32 v56, v150                                // temp store offset 0
v_mov_b32 v57, v151                                // temp store offset 1
v_cmp_lt_u32 s[36:37], v48, s[sgprSizesFree+0]     // coord0 < size0
v_cmp_lt_u32 s[38:39], v49, s[sgprSizesFree+1]     // coord1 < size1
s_and_b64 s[84:85], s[36:37], s[38:39]             // in0 && in1
s_mov_b64 exec, s[84:85]                           // sgprs -> exec
_v_add_co_u32 v150, vcc, v52, v56                  // addrVgpr = C + index*bytes (lo)
_v_addc_co_u32 v151, vcc, v53, v57, vcc            // addrVgpr = C + index*bytes (hi)
_global_load_b32 v152, v[150:151], off, offset:0   // load C for beta calc
GLOBAL_OFFSET_D 150, 48, 49, sgprWorkGroup2, 56
v_mov_b32 v56, v150                                // temp store offset 0
v_mov_b32 v57, v151                                // temp store offset 1
v_cmp_lt_u32 s[36:37], v48, s[sgprSizesFree+0]     // coord0 < size0
v_cmp_lt_u32 s[38:39], v49, s[sgprSizesFree+1]     // coord1 < size1
s_and_b64 s[84:85], s[36:37], s[38:39]             // in0 && in1
s_mov_b64 exec, s[84:85]                           // sgprs -> exec
_v_add_co_u32 v150, vcc, v50, v56                  // addrVgpr = D + index*bytes (lo)
_v_addc_co_u32 v151, vcc, v51, v57, vcc            // addrVgpr = D + index*bytes (hi)
s_mov_b64 exec, -1                                 // full mask -1 -> exec
/* (d1,vc1,d0,vc0)=(2,3,1,0) */
_v_add_co_u32 v54, vcc, v48, 64                    // coord0.1: coord0 += d0*sg0*VW + vc0
GLOBAL_OFFSET_C 154, 54, 49, sgprWorkGroup2, 56
v_mov_b32 v56, v154                                // temp store offset 0
v_mov_b32 v57, v155                                // temp store offset 1
v_cmp_lt_u32 s[36:37], v54, s[sgprSizesFree+0]     // coord0 < size0
v_cmp_lt_u32 s[38:39], v49, s[sgprSizesFree+1]     // coord1 < size1
s_and_b64 s[86:87], s[36:37], s[38:39]             // in0 && in1
s_mov_b64 exec, s[86:87]                           // sgprs -> exec
_v_add_co_u32 v154, vcc, v52, v56                  // addrVgpr = C + index*bytes (lo)
_v_addc_co_u32 v155, vcc, v53, v57, vcc            // addrVgpr = C + index*bytes (hi)
_global_load_b32 v156, v[154:155], off, offset:0   // load C for beta calc
GLOBAL_OFFSET_D 154, 54, 49, sgprWorkGroup2, 56
v_mov_b32 v56, v154                                // temp store offset 0
v_mov_b32 v57, v155                                // temp store offset 1
v_cmp_lt_u32 s[36:37], v54, s[sgprSizesFree+0]     // coord0 < size0
v_cmp_lt_u32 s[38:39], v49, s[sgprSizesFree+1]     // coord1 < size1
s_and_b64 s[86:87], s[36:37], s[38:39]             // in0 && in1
s_mov_b64 exec, s[86:87]                           // sgprs -> exec
_v_add_co_u32 v154, vcc, v50, v56                  // addrVgpr = D + index*bytes (lo)
_v_addc_co_u32 v155, vcc, v51, v57, vcc            // addrVgpr = D + index*bytes (hi)
s_mov_b64 exec, -1                                 // full mask -1 -> exec
/* (d1,vc1,d0,vc0)=(3,0,0,0) */
_v_add_co_u32 v49, vcc, v49, 13                    // coord1.1: coord1Vgpr += d1*sg1*VW + vc1
GLOBAL_OFFSET_C 158, 48, 49, sgprWorkGroup2, 56
v_mov_b32 v56, v158                                // temp store offset 0
v_mov_b32 v57, v159                                // temp store offset 1
v_cmp_lt_u32 s[36:37], v48, s[sgprSizesFree+0]     // coord0 < size0
v_cmp_lt_u32 s[38:39], v49, s[sgprSizesFree+1]     // coord1 < size1
s_and_b64 s[88:89], s[36:37], s[38:39]             // in0 && in1
s_mov_b64 exec, s[88:89]                           // sgprs -> exec
_v_add_co_u32 v158, vcc, v52, v56                  // addrVgpr = C + index*bytes (lo)
_v_addc_co_u32 v159, vcc, v53, v57, vcc            // addrVgpr = C + index*bytes (hi)
_global_load_b32 v160, v[158:159], off, offset:0   // load C for beta calc
GLOBAL_OFFSET_D 158, 48, 49, sgprWorkGroup2, 56
v_mov_b32 v56, v158                                // temp store offset 0
v_mov_b32 v57, v159                                // temp store offset 1
v_cmp_lt_u32 s[36:37], v48, s[sgprSizesFree+0]     // coord0 < size0
v_cmp_lt_u32 s[38:39], v49, s[sgprSizesFree+1]     // coord1 < size1
s_and_b64 s[88:89], s[36:37], s[38:39]             // in0 && in1
s_mov_b64 exec, s[88:89]                           // sgprs -> exec
_v_add_co_u32 v158, vcc, v50, v56                  // addrVgpr = D + index*bytes (lo)
_v_addc_co_u32 v159, vcc, v51, v57, vcc            // addrVgpr = D + index*bytes (hi)
s_mov_b64 exec, -1                                 // full mask -1 -> exec
/* (d1,vc1,d0,vc0)=(3,0,1,0) */
_v_add_co_u32 v54, vcc, v48, 64                    // coord0.1: coord0 += d0*sg0*VW + vc0
GLOBAL_OFFSET_C 162, 54, 49, sgprWorkGroup2, 56
v_mov_b32 v56, v162                                // temp store offset 0
v_mov_b32 v57, v163                                // temp store offset 1
v_cmp_lt_u32 s[36:37], v54, s[sgprSizesFree+0]     // coord0 < size0
v_cmp_lt_u32 s[38:39], v49, s[sgprSizesFree+1]     // coord1 < size1
s_and_b64 s[90:91], s[36:37], s[38:39]             // in0 && in1
s_mov_b64 exec, s[90:91]                           // sgprs -> exec
_v_add_co_u32 v162, vcc, v52, v56                  // addrVgpr = C + index*bytes (lo)
_v_addc_co_u32 v163, vcc, v53, v57, vcc            // addrVgpr = C + index*bytes (hi)
_global_load_b32 v164, v[162:163], off, offset:0   // load C for beta calc
GLOBAL_OFFSET_D 162, 54, 49, sgprWorkGroup2, 56
v_mov_b32 v56, v162                                // temp store offset 0
v_mov_b32 v57, v163                                // temp store offset 1
v_cmp_lt_u32 s[36:37], v54, s[sgprSizesFree+0]     // coord0 < size0
v_cmp_lt_u32 s[38:39], v49, s[sgprSizesFree+1]     // coord1 < size1
s_and_b64 s[90:91], s[36:37], s[38:39]             // in0 && in1
s_mov_b64 exec, s[90:91]                           // sgprs -> exec
_v_add_co_u32 v162, vcc, v50, v56                  // addrVgpr = D + index*bytes (lo)
_v_addc_co_u32 v163, vcc, v51, v57, vcc            // addrVgpr = D + index*bytes (hi)
s_mov_b64 exec, -1                                 // full mask -1 -> exec

/* rC *= alpha batchElements=[(0, 0, 0, 0), (0, 1, 0, 0), (0, 0, 1, 0), (0, 1, 1, 0), (0, 0, 2, 0), (0, 1, 2, 0), (0, 0, 3, 0), (0, 1, 3, 0), (1, 0, 0, 0), (1, 1, 0, 0), (1, 0, 1, 0), (1, 1, 1, 0), (1, 0, 2, 0), (1, 1, 2, 0), (1, 0, 3, 0), (1, 1, 3, 0), (2, 0, 0, 0), (2, 1, 0, 0), (2, 0, 1, 0), (2, 1, 1, 0), (2, 0, 2, 0), (2, 1, 2, 0), (2, 0, 3, 0), (2, 1, 3, 0), (3, 0, 0, 0), (3, 1, 0, 0)] */
v_mul_f32 v[vgprValuC+62], s[sgprAlpha], v[vgprValuC+0] // Multiply MI out reg with alpha
v_mul_f32 v[vgprValuC+66], s[sgprAlpha], v[vgprValuC+4] // Multiply MI out reg with alpha
	;; [unrolled: 1-line block ×26, first 2 shown]
s_waitcnt vmcnt(0)                                 // wait C

/* apply mask, calc new C and issue writes */
s_mov_b64 exec, s[40:41]                           // sgprs -> exec
_v_mac_f32 v[vgprValuC+62], v59, s[sgprBeta]       // finalSum = sum*alpha + C*beta
_global_store_b32 v[60:61], v62, off               // store D
s_mov_b64 exec, s[42:43]                           // sgprs -> exec
_v_mac_f32 v[vgprValuC+66], v63, s[sgprBeta]       // finalSum = sum*alpha + C*beta
_global_store_b32 v[64:65], v66, off               // store D
	;; [unrolled: 3-line block ×10, first 2 shown]
s_mov_b64 exec, s[60:61]                           // sgprs -> exec
_v_mac_f32 v[vgprValuC+102], v99, s[sgprBeta]      // finalSum = sum*alpha + C*beta
_global_store_b32 v[100:101], v102, off            // store D
s_mov_b64 exec, s[62:63]                           // sgprs -> exec
_v_mac_f32 v[vgprValuC+106], v103, s[sgprBeta]     // finalSum = sum*alpha + C*beta
_global_store_b32 v[104:105], v106, off            // store D
s_mov_b64 exec, s[64:65]                           // sgprs -> exec
_v_mac_f32 v[vgprValuC+110], v107, s[sgprBeta]     // finalSum = sum*alpha + C*beta
	;; [unrolled: 3-line block ×15, first 2 shown]
_global_store_b32 v[162:163], v165, off            // store D
s_mov_b64 exec, -1                                 // full mask -> exec
s_nop 0                                            // 1 wait state required when next inst writes vgprs held by previous dwordx4 store inst
/* optSingleColVgpr=0 optSharedColVgpr=0 optSGPRUsage=None optSrdIncForRow=0 */

/******************************************/
/* Global Write Alpha Beta Edge Batch #1 (d1,d0,vc1,vc0) = */
/*    (3,0,1,0:vw1); (3,1,1,0:vw1); (3,0,2,0:vw1); (3,1,2,0:vw1); (3,0,3,0:vw1); (3,1,3,0:vw1); (4,0,0,0:vw1); (4,1,0,0:vw1); (4,0,1,0:vw1); (4,1,1,0:vw1); (4,0,2,0:vw1); (4,1,2,0:vw1); (4,0,3,0:vw1); (4,1,3,0:vw1); (5,0,0,0:vw1); (5,1,0,0:vw1); (5,0,1,0:vw1); (5,1,1,0:vw1); (5,0,2,0:vw1); (5,1,2,0:vw1); (5,0,3,0:vw1); (5,1,3,0:vw1) */
/******************************************/

/* calc coords, apply mask, and issue loads (if necessary) */
/* (d1,vc1,d0,vc0)=(3,1,0,0) */
_v_add_co_u32 v49, vcc, v49, 1                     // coord1.1: coord1Vgpr += d1*sg1*VW + vc1
GLOBAL_OFFSET_C 60, 48, 49, sgprWorkGroup2, 56
v_mov_b32 v56, v60                                 // temp store offset 0
v_mov_b32 v57, v61                                 // temp store offset 1
v_cmp_lt_u32 s[36:37], v48, s[sgprSizesFree+0]     // coord0 < size0
v_cmp_lt_u32 s[38:39], v49, s[sgprSizesFree+1]     // coord1 < size1
s_and_b64 s[40:41], s[36:37], s[38:39]             // in0 && in1
s_mov_b64 exec, s[40:41]                           // sgprs -> exec
_v_add_co_u32 v60, vcc, v52, v56                   // addrVgpr = C + index*bytes (lo)
_v_addc_co_u32 v61, vcc, v53, v57, vcc             // addrVgpr = C + index*bytes (hi)
_global_load_b32 v59, v[60:61], off, offset:0      // load C for beta calc
GLOBAL_OFFSET_D 60, 48, 49, sgprWorkGroup2, 56
v_mov_b32 v56, v60                                 // temp store offset 0
v_mov_b32 v57, v61                                 // temp store offset 1
v_cmp_lt_u32 s[36:37], v48, s[sgprSizesFree+0]     // coord0 < size0
v_cmp_lt_u32 s[38:39], v49, s[sgprSizesFree+1]     // coord1 < size1
s_and_b64 s[40:41], s[36:37], s[38:39]             // in0 && in1
s_mov_b64 exec, s[40:41]                           // sgprs -> exec
_v_add_co_u32 v60, vcc, v50, v56                   // addrVgpr = D + index*bytes (lo)
_v_addc_co_u32 v61, vcc, v51, v57, vcc             // addrVgpr = D + index*bytes (hi)
s_mov_b64 exec, -1                                 // full mask -1 -> exec
/* (d1,vc1,d0,vc0)=(3,1,1,0) */
_v_add_co_u32 v54, vcc, v48, 64                    // coord0.1: coord0 += d0*sg0*VW + vc0
GLOBAL_OFFSET_C 64, 54, 49, sgprWorkGroup2, 56
v_mov_b32 v56, v64                                 // temp store offset 0
v_mov_b32 v57, v65                                 // temp store offset 1
v_cmp_lt_u32 s[36:37], v54, s[sgprSizesFree+0]     // coord0 < size0
v_cmp_lt_u32 s[38:39], v49, s[sgprSizesFree+1]     // coord1 < size1
s_and_b64 s[42:43], s[36:37], s[38:39]             // in0 && in1
s_mov_b64 exec, s[42:43]                           // sgprs -> exec
_v_add_co_u32 v64, vcc, v52, v56                   // addrVgpr = C + index*bytes (lo)
_v_addc_co_u32 v65, vcc, v53, v57, vcc             // addrVgpr = C + index*bytes (hi)
_global_load_b32 v63, v[64:65], off, offset:0      // load C for beta calc
GLOBAL_OFFSET_D 64, 54, 49, sgprWorkGroup2, 56
v_mov_b32 v56, v64                                 // temp store offset 0
v_mov_b32 v57, v65                                 // temp store offset 1
v_cmp_lt_u32 s[36:37], v54, s[sgprSizesFree+0]     // coord0 < size0
v_cmp_lt_u32 s[38:39], v49, s[sgprSizesFree+1]     // coord1 < size1
s_and_b64 s[42:43], s[36:37], s[38:39]             // in0 && in1
s_mov_b64 exec, s[42:43]                           // sgprs -> exec
_v_add_co_u32 v64, vcc, v50, v56                   // addrVgpr = D + index*bytes (lo)
_v_addc_co_u32 v65, vcc, v51, v57, vcc             // addrVgpr = D + index*bytes (hi)
s_mov_b64 exec, -1                                 // full mask -1 -> exec
/* (d1,vc1,d0,vc0)=(3,2,0,0) */
_v_add_co_u32 v49, vcc, v49, 1                     // coord1.1: coord1Vgpr += d1*sg1*VW + vc1
GLOBAL_OFFSET_C 68, 48, 49, sgprWorkGroup2, 56
v_mov_b32 v56, v68                                 // temp store offset 0
v_mov_b32 v57, v69                                 // temp store offset 1
v_cmp_lt_u32 s[36:37], v48, s[sgprSizesFree+0]     // coord0 < size0
v_cmp_lt_u32 s[38:39], v49, s[sgprSizesFree+1]     // coord1 < size1
s_and_b64 s[44:45], s[36:37], s[38:39]             // in0 && in1
s_mov_b64 exec, s[44:45]                           // sgprs -> exec
_v_add_co_u32 v68, vcc, v52, v56                   // addrVgpr = C + index*bytes (lo)
_v_addc_co_u32 v69, vcc, v53, v57, vcc             // addrVgpr = C + index*bytes (hi)
_global_load_b32 v67, v[68:69], off, offset:0      // load C for beta calc
GLOBAL_OFFSET_D 68, 48, 49, sgprWorkGroup2, 56
v_mov_b32 v56, v68                                 // temp store offset 0
v_mov_b32 v57, v69                                 // temp store offset 1
v_cmp_lt_u32 s[36:37], v48, s[sgprSizesFree+0]     // coord0 < size0
v_cmp_lt_u32 s[38:39], v49, s[sgprSizesFree+1]     // coord1 < size1
s_and_b64 s[44:45], s[36:37], s[38:39]             // in0 && in1
s_mov_b64 exec, s[44:45]                           // sgprs -> exec
_v_add_co_u32 v68, vcc, v50, v56                   // addrVgpr = D + index*bytes (lo)
_v_addc_co_u32 v69, vcc, v51, v57, vcc             // addrVgpr = D + index*bytes (hi)
s_mov_b64 exec, -1                                 // full mask -1 -> exec
/* (d1,vc1,d0,vc0)=(3,2,1,0) */
_v_add_co_u32 v54, vcc, v48, 64                    // coord0.1: coord0 += d0*sg0*VW + vc0
GLOBAL_OFFSET_C 72, 54, 49, sgprWorkGroup2, 56
v_mov_b32 v56, v72                                 // temp store offset 0
v_mov_b32 v57, v73                                 // temp store offset 1
v_cmp_lt_u32 s[36:37], v54, s[sgprSizesFree+0]     // coord0 < size0
v_cmp_lt_u32 s[38:39], v49, s[sgprSizesFree+1]     // coord1 < size1
s_and_b64 s[46:47], s[36:37], s[38:39]             // in0 && in1
s_mov_b64 exec, s[46:47]                           // sgprs -> exec
_v_add_co_u32 v72, vcc, v52, v56                   // addrVgpr = C + index*bytes (lo)
_v_addc_co_u32 v73, vcc, v53, v57, vcc             // addrVgpr = C + index*bytes (hi)
_global_load_b32 v71, v[72:73], off, offset:0      // load C for beta calc
GLOBAL_OFFSET_D 72, 54, 49, sgprWorkGroup2, 56
v_mov_b32 v56, v72                                 // temp store offset 0
v_mov_b32 v57, v73                                 // temp store offset 1
v_cmp_lt_u32 s[36:37], v54, s[sgprSizesFree+0]     // coord0 < size0
v_cmp_lt_u32 s[38:39], v49, s[sgprSizesFree+1]     // coord1 < size1
s_and_b64 s[46:47], s[36:37], s[38:39]             // in0 && in1
s_mov_b64 exec, s[46:47]                           // sgprs -> exec
_v_add_co_u32 v72, vcc, v50, v56                   // addrVgpr = D + index*bytes (lo)
_v_addc_co_u32 v73, vcc, v51, v57, vcc             // addrVgpr = D + index*bytes (hi)
s_mov_b64 exec, -1                                 // full mask -1 -> exec
	;; [unrolled: 44-line block ×3, first 2 shown]
/* (d1,vc1,d0,vc0)=(4,0,0,0) */
_v_add_co_u32 v49, vcc, v49, 13                    // coord1.1: coord1Vgpr += d1*sg1*VW + vc1
GLOBAL_OFFSET_C 84, 48, 49, sgprWorkGroup2, 56
v_mov_b32 v56, v84                                 // temp store offset 0
v_mov_b32 v57, v85                                 // temp store offset 1
v_cmp_lt_u32 s[36:37], v48, s[sgprSizesFree+0]     // coord0 < size0
v_cmp_lt_u32 s[38:39], v49, s[sgprSizesFree+1]     // coord1 < size1
s_and_b64 s[52:53], s[36:37], s[38:39]             // in0 && in1
s_mov_b64 exec, s[52:53]                           // sgprs -> exec
_v_add_co_u32 v84, vcc, v52, v56                   // addrVgpr = C + index*bytes (lo)
_v_addc_co_u32 v85, vcc, v53, v57, vcc             // addrVgpr = C + index*bytes (hi)
_global_load_b32 v83, v[84:85], off, offset:0      // load C for beta calc
GLOBAL_OFFSET_D 84, 48, 49, sgprWorkGroup2, 56
v_mov_b32 v56, v84                                 // temp store offset 0
v_mov_b32 v57, v85                                 // temp store offset 1
v_cmp_lt_u32 s[36:37], v48, s[sgprSizesFree+0]     // coord0 < size0
v_cmp_lt_u32 s[38:39], v49, s[sgprSizesFree+1]     // coord1 < size1
s_and_b64 s[52:53], s[36:37], s[38:39]             // in0 && in1
s_mov_b64 exec, s[52:53]                           // sgprs -> exec
_v_add_co_u32 v84, vcc, v50, v56                   // addrVgpr = D + index*bytes (lo)
_v_addc_co_u32 v85, vcc, v51, v57, vcc             // addrVgpr = D + index*bytes (hi)
s_mov_b64 exec, -1                                 // full mask -1 -> exec
/* (d1,vc1,d0,vc0)=(4,0,1,0) */
_v_add_co_u32 v54, vcc, v48, 64                    // coord0.1: coord0 += d0*sg0*VW + vc0
GLOBAL_OFFSET_C 88, 54, 49, sgprWorkGroup2, 56
v_mov_b32 v56, v88                                 // temp store offset 0
v_mov_b32 v57, v89                                 // temp store offset 1
v_cmp_lt_u32 s[36:37], v54, s[sgprSizesFree+0]     // coord0 < size0
v_cmp_lt_u32 s[38:39], v49, s[sgprSizesFree+1]     // coord1 < size1
s_and_b64 s[54:55], s[36:37], s[38:39]             // in0 && in1
s_mov_b64 exec, s[54:55]                           // sgprs -> exec
_v_add_co_u32 v88, vcc, v52, v56                   // addrVgpr = C + index*bytes (lo)
_v_addc_co_u32 v89, vcc, v53, v57, vcc             // addrVgpr = C + index*bytes (hi)
_global_load_b32 v87, v[88:89], off, offset:0      // load C for beta calc
GLOBAL_OFFSET_D 88, 54, 49, sgprWorkGroup2, 56
v_mov_b32 v56, v88                                 // temp store offset 0
v_mov_b32 v57, v89                                 // temp store offset 1
v_cmp_lt_u32 s[36:37], v54, s[sgprSizesFree+0]     // coord0 < size0
v_cmp_lt_u32 s[38:39], v49, s[sgprSizesFree+1]     // coord1 < size1
s_and_b64 s[54:55], s[36:37], s[38:39]             // in0 && in1
s_mov_b64 exec, s[54:55]                           // sgprs -> exec
_v_add_co_u32 v88, vcc, v50, v56                   // addrVgpr = D + index*bytes (lo)
_v_addc_co_u32 v89, vcc, v51, v57, vcc             // addrVgpr = D + index*bytes (hi)
s_mov_b64 exec, -1                                 // full mask -1 -> exec
/* (d1,vc1,d0,vc0)=(4,1,0,0) */
_v_add_co_u32 v49, vcc, v49, 1                     // coord1.1: coord1Vgpr += d1*sg1*VW + vc1
GLOBAL_OFFSET_C 92, 48, 49, sgprWorkGroup2, 56
v_mov_b32 v56, v92                                 // temp store offset 0
v_mov_b32 v57, v93                                 // temp store offset 1
v_cmp_lt_u32 s[36:37], v48, s[sgprSizesFree+0]     // coord0 < size0
v_cmp_lt_u32 s[38:39], v49, s[sgprSizesFree+1]     // coord1 < size1
s_and_b64 s[56:57], s[36:37], s[38:39]             // in0 && in1
s_mov_b64 exec, s[56:57]                           // sgprs -> exec
_v_add_co_u32 v92, vcc, v52, v56                   // addrVgpr = C + index*bytes (lo)
_v_addc_co_u32 v93, vcc, v53, v57, vcc             // addrVgpr = C + index*bytes (hi)
_global_load_b32 v91, v[92:93], off, offset:0      // load C for beta calc
GLOBAL_OFFSET_D 92, 48, 49, sgprWorkGroup2, 56
v_mov_b32 v56, v92                                 // temp store offset 0
v_mov_b32 v57, v93                                 // temp store offset 1
v_cmp_lt_u32 s[36:37], v48, s[sgprSizesFree+0]     // coord0 < size0
v_cmp_lt_u32 s[38:39], v49, s[sgprSizesFree+1]     // coord1 < size1
s_and_b64 s[56:57], s[36:37], s[38:39]             // in0 && in1
s_mov_b64 exec, s[56:57]                           // sgprs -> exec
_v_add_co_u32 v92, vcc, v50, v56                   // addrVgpr = D + index*bytes (lo)
_v_addc_co_u32 v93, vcc, v51, v57, vcc             // addrVgpr = D + index*bytes (hi)
s_mov_b64 exec, -1                                 // full mask -1 -> exec
/* (d1,vc1,d0,vc0)=(4,1,1,0) */
_v_add_co_u32 v54, vcc, v48, 64                    // coord0.1: coord0 += d0*sg0*VW + vc0
GLOBAL_OFFSET_C 96, 54, 49, sgprWorkGroup2, 56
v_mov_b32 v56, v96                                 // temp store offset 0
v_mov_b32 v57, v97                                 // temp store offset 1
v_cmp_lt_u32 s[36:37], v54, s[sgprSizesFree+0]     // coord0 < size0
v_cmp_lt_u32 s[38:39], v49, s[sgprSizesFree+1]     // coord1 < size1
s_and_b64 s[58:59], s[36:37], s[38:39]             // in0 && in1
s_mov_b64 exec, s[58:59]                           // sgprs -> exec
_v_add_co_u32 v96, vcc, v52, v56                   // addrVgpr = C + index*bytes (lo)
_v_addc_co_u32 v97, vcc, v53, v57, vcc             // addrVgpr = C + index*bytes (hi)
_global_load_b32 v95, v[96:97], off, offset:0      // load C for beta calc
GLOBAL_OFFSET_D 96, 54, 49, sgprWorkGroup2, 56
v_mov_b32 v56, v96                                 // temp store offset 0
v_mov_b32 v57, v97                                 // temp store offset 1
v_cmp_lt_u32 s[36:37], v54, s[sgprSizesFree+0]     // coord0 < size0
v_cmp_lt_u32 s[38:39], v49, s[sgprSizesFree+1]     // coord1 < size1
s_and_b64 s[58:59], s[36:37], s[38:39]             // in0 && in1
s_mov_b64 exec, s[58:59]                           // sgprs -> exec
_v_add_co_u32 v96, vcc, v50, v56                   // addrVgpr = D + index*bytes (lo)
_v_addc_co_u32 v97, vcc, v51, v57, vcc             // addrVgpr = D + index*bytes (hi)
s_mov_b64 exec, -1                                 // full mask -1 -> exec
/* (d1,vc1,d0,vc0)=(4,2,0,0) */
_v_add_co_u32 v49, vcc, v49, 1                     // coord1.1: coord1Vgpr += d1*sg1*VW + vc1
GLOBAL_OFFSET_C 100, 48, 49, sgprWorkGroup2, 56
v_mov_b32 v56, v100                                // temp store offset 0
v_mov_b32 v57, v101                                // temp store offset 1
v_cmp_lt_u32 s[36:37], v48, s[sgprSizesFree+0]     // coord0 < size0
v_cmp_lt_u32 s[38:39], v49, s[sgprSizesFree+1]     // coord1 < size1
s_and_b64 s[60:61], s[36:37], s[38:39]             // in0 && in1
s_mov_b64 exec, s[60:61]                           // sgprs -> exec
_v_add_co_u32 v100, vcc, v52, v56                  // addrVgpr = C + index*bytes (lo)
_v_addc_co_u32 v101, vcc, v53, v57, vcc            // addrVgpr = C + index*bytes (hi)
_global_load_b32 v99, v[100:101], off, offset:0    // load C for beta calc
GLOBAL_OFFSET_D 100, 48, 49, sgprWorkGroup2, 56
v_mov_b32 v56, v100                                // temp store offset 0
v_mov_b32 v57, v101                                // temp store offset 1
v_cmp_lt_u32 s[36:37], v48, s[sgprSizesFree+0]     // coord0 < size0
v_cmp_lt_u32 s[38:39], v49, s[sgprSizesFree+1]     // coord1 < size1
s_and_b64 s[60:61], s[36:37], s[38:39]             // in0 && in1
s_mov_b64 exec, s[60:61]                           // sgprs -> exec
_v_add_co_u32 v100, vcc, v50, v56                  // addrVgpr = D + index*bytes (lo)
_v_addc_co_u32 v101, vcc, v51, v57, vcc            // addrVgpr = D + index*bytes (hi)
s_mov_b64 exec, -1                                 // full mask -1 -> exec
/* (d1,vc1,d0,vc0)=(4,2,1,0) */
_v_add_co_u32 v54, vcc, v48, 64                    // coord0.1: coord0 += d0*sg0*VW + vc0
GLOBAL_OFFSET_C 104, 54, 49, sgprWorkGroup2, 56
v_mov_b32 v56, v104                                // temp store offset 0
v_mov_b32 v57, v105                                // temp store offset 1
v_cmp_lt_u32 s[36:37], v54, s[sgprSizesFree+0]     // coord0 < size0
v_cmp_lt_u32 s[38:39], v49, s[sgprSizesFree+1]     // coord1 < size1
s_and_b64 s[62:63], s[36:37], s[38:39]             // in0 && in1
s_mov_b64 exec, s[62:63]                           // sgprs -> exec
_v_add_co_u32 v104, vcc, v52, v56                  // addrVgpr = C + index*bytes (lo)
_v_addc_co_u32 v105, vcc, v53, v57, vcc            // addrVgpr = C + index*bytes (hi)
_global_load_b32 v103, v[104:105], off, offset:0   // load C for beta calc
GLOBAL_OFFSET_D 104, 54, 49, sgprWorkGroup2, 56
v_mov_b32 v56, v104                                // temp store offset 0
v_mov_b32 v57, v105                                // temp store offset 1
v_cmp_lt_u32 s[36:37], v54, s[sgprSizesFree+0]     // coord0 < size0
v_cmp_lt_u32 s[38:39], v49, s[sgprSizesFree+1]     // coord1 < size1
s_and_b64 s[62:63], s[36:37], s[38:39]             // in0 && in1
s_mov_b64 exec, s[62:63]                           // sgprs -> exec
_v_add_co_u32 v104, vcc, v50, v56                  // addrVgpr = D + index*bytes (lo)
_v_addc_co_u32 v105, vcc, v51, v57, vcc            // addrVgpr = D + index*bytes (hi)
s_mov_b64 exec, -1                                 // full mask -1 -> exec
/* (d1,vc1,d0,vc0)=(4,3,0,0) */
_v_add_co_u32 v49, vcc, v49, 1                     // coord1.1: coord1Vgpr += d1*sg1*VW + vc1
GLOBAL_OFFSET_C 108, 48, 49, sgprWorkGroup2, 56
v_mov_b32 v56, v108                                // temp store offset 0
v_mov_b32 v57, v109                                // temp store offset 1
v_cmp_lt_u32 s[36:37], v48, s[sgprSizesFree+0]     // coord0 < size0
v_cmp_lt_u32 s[38:39], v49, s[sgprSizesFree+1]     // coord1 < size1
s_and_b64 s[64:65], s[36:37], s[38:39]             // in0 && in1
s_mov_b64 exec, s[64:65]                           // sgprs -> exec
_v_add_co_u32 v108, vcc, v52, v56                  // addrVgpr = C + index*bytes (lo)
_v_addc_co_u32 v109, vcc, v53, v57, vcc            // addrVgpr = C + index*bytes (hi)
_global_load_b32 v107, v[108:109], off, offset:0   // load C for beta calc
GLOBAL_OFFSET_D 108, 48, 49, sgprWorkGroup2, 56
v_mov_b32 v56, v108                                // temp store offset 0
v_mov_b32 v57, v109                                // temp store offset 1
v_cmp_lt_u32 s[36:37], v48, s[sgprSizesFree+0]     // coord0 < size0
v_cmp_lt_u32 s[38:39], v49, s[sgprSizesFree+1]     // coord1 < size1
s_and_b64 s[64:65], s[36:37], s[38:39]             // in0 && in1
s_mov_b64 exec, s[64:65]                           // sgprs -> exec
_v_add_co_u32 v108, vcc, v50, v56                  // addrVgpr = D + index*bytes (lo)
_v_addc_co_u32 v109, vcc, v51, v57, vcc            // addrVgpr = D + index*bytes (hi)
s_mov_b64 exec, -1                                 // full mask -1 -> exec
/* (d1,vc1,d0,vc0)=(4,3,1,0) */
_v_add_co_u32 v54, vcc, v48, 64                    // coord0.1: coord0 += d0*sg0*VW + vc0
GLOBAL_OFFSET_C 112, 54, 49, sgprWorkGroup2, 56
v_mov_b32 v56, v112                                // temp store offset 0
v_mov_b32 v57, v113                                // temp store offset 1
v_cmp_lt_u32 s[36:37], v54, s[sgprSizesFree+0]     // coord0 < size0
v_cmp_lt_u32 s[38:39], v49, s[sgprSizesFree+1]     // coord1 < size1
s_and_b64 s[66:67], s[36:37], s[38:39]             // in0 && in1
s_mov_b64 exec, s[66:67]                           // sgprs -> exec
_v_add_co_u32 v112, vcc, v52, v56                  // addrVgpr = C + index*bytes (lo)
_v_addc_co_u32 v113, vcc, v53, v57, vcc            // addrVgpr = C + index*bytes (hi)
_global_load_b32 v111, v[112:113], off, offset:0   // load C for beta calc
GLOBAL_OFFSET_D 112, 54, 49, sgprWorkGroup2, 56
v_mov_b32 v56, v112                                // temp store offset 0
v_mov_b32 v57, v113                                // temp store offset 1
v_cmp_lt_u32 s[36:37], v54, s[sgprSizesFree+0]     // coord0 < size0
v_cmp_lt_u32 s[38:39], v49, s[sgprSizesFree+1]     // coord1 < size1
s_and_b64 s[66:67], s[36:37], s[38:39]             // in0 && in1
s_mov_b64 exec, s[66:67]                           // sgprs -> exec
_v_add_co_u32 v112, vcc, v50, v56                  // addrVgpr = D + index*bytes (lo)
_v_addc_co_u32 v113, vcc, v51, v57, vcc            // addrVgpr = D + index*bytes (hi)
s_mov_b64 exec, -1                                 // full mask -1 -> exec
/* (d1,vc1,d0,vc0)=(5,0,0,0) */
_v_add_co_u32 v49, vcc, v49, 13                    // coord1.1: coord1Vgpr += d1*sg1*VW + vc1
GLOBAL_OFFSET_C 116, 48, 49, sgprWorkGroup2, 56
v_mov_b32 v56, v116                                // temp store offset 0
v_mov_b32 v57, v117                                // temp store offset 1
v_cmp_lt_u32 s[36:37], v48, s[sgprSizesFree+0]     // coord0 < size0
v_cmp_lt_u32 s[38:39], v49, s[sgprSizesFree+1]     // coord1 < size1
s_and_b64 s[68:69], s[36:37], s[38:39]             // in0 && in1
s_mov_b64 exec, s[68:69]                           // sgprs -> exec
_v_add_co_u32 v116, vcc, v52, v56                  // addrVgpr = C + index*bytes (lo)
_v_addc_co_u32 v117, vcc, v53, v57, vcc            // addrVgpr = C + index*bytes (hi)
_global_load_b32 v115, v[116:117], off, offset:0   // load C for beta calc
GLOBAL_OFFSET_D 116, 48, 49, sgprWorkGroup2, 56
v_mov_b32 v56, v116                                // temp store offset 0
v_mov_b32 v57, v117                                // temp store offset 1
v_cmp_lt_u32 s[36:37], v48, s[sgprSizesFree+0]     // coord0 < size0
v_cmp_lt_u32 s[38:39], v49, s[sgprSizesFree+1]     // coord1 < size1
s_and_b64 s[68:69], s[36:37], s[38:39]             // in0 && in1
s_mov_b64 exec, s[68:69]                           // sgprs -> exec
_v_add_co_u32 v116, vcc, v50, v56                  // addrVgpr = D + index*bytes (lo)
_v_addc_co_u32 v117, vcc, v51, v57, vcc            // addrVgpr = D + index*bytes (hi)
s_mov_b64 exec, -1                                 // full mask -1 -> exec
/* (d1,vc1,d0,vc0)=(5,0,1,0) */
_v_add_co_u32 v54, vcc, v48, 64                    // coord0.1: coord0 += d0*sg0*VW + vc0
GLOBAL_OFFSET_C 120, 54, 49, sgprWorkGroup2, 56
v_mov_b32 v56, v120                                // temp store offset 0
v_mov_b32 v57, v121                                // temp store offset 1
v_cmp_lt_u32 s[36:37], v54, s[sgprSizesFree+0]     // coord0 < size0
v_cmp_lt_u32 s[38:39], v49, s[sgprSizesFree+1]     // coord1 < size1
s_and_b64 s[70:71], s[36:37], s[38:39]             // in0 && in1
s_mov_b64 exec, s[70:71]                           // sgprs -> exec
_v_add_co_u32 v120, vcc, v52, v56                  // addrVgpr = C + index*bytes (lo)
_v_addc_co_u32 v121, vcc, v53, v57, vcc            // addrVgpr = C + index*bytes (hi)
_global_load_b32 v119, v[120:121], off, offset:0   // load C for beta calc
GLOBAL_OFFSET_D 120, 54, 49, sgprWorkGroup2, 56
v_mov_b32 v56, v120                                // temp store offset 0
v_mov_b32 v57, v121                                // temp store offset 1
v_cmp_lt_u32 s[36:37], v54, s[sgprSizesFree+0]     // coord0 < size0
v_cmp_lt_u32 s[38:39], v49, s[sgprSizesFree+1]     // coord1 < size1
s_and_b64 s[70:71], s[36:37], s[38:39]             // in0 && in1
s_mov_b64 exec, s[70:71]                           // sgprs -> exec
_v_add_co_u32 v120, vcc, v50, v56                  // addrVgpr = D + index*bytes (lo)
_v_addc_co_u32 v121, vcc, v51, v57, vcc            // addrVgpr = D + index*bytes (hi)
s_mov_b64 exec, -1                                 // full mask -1 -> exec
/* (d1,vc1,d0,vc0)=(5,1,0,0) */
_v_add_co_u32 v49, vcc, v49, 1                     // coord1.1: coord1Vgpr += d1*sg1*VW + vc1
GLOBAL_OFFSET_C 124, 48, 49, sgprWorkGroup2, 56
v_mov_b32 v56, v124                                // temp store offset 0
v_mov_b32 v57, v125                                // temp store offset 1
v_cmp_lt_u32 s[36:37], v48, s[sgprSizesFree+0]     // coord0 < size0
v_cmp_lt_u32 s[38:39], v49, s[sgprSizesFree+1]     // coord1 < size1
s_and_b64 s[72:73], s[36:37], s[38:39]             // in0 && in1
s_mov_b64 exec, s[72:73]                           // sgprs -> exec
_v_add_co_u32 v124, vcc, v52, v56                  // addrVgpr = C + index*bytes (lo)
_v_addc_co_u32 v125, vcc, v53, v57, vcc            // addrVgpr = C + index*bytes (hi)
_global_load_b32 v123, v[124:125], off, offset:0   // load C for beta calc
GLOBAL_OFFSET_D 124, 48, 49, sgprWorkGroup2, 56
v_mov_b32 v56, v124                                // temp store offset 0
v_mov_b32 v57, v125                                // temp store offset 1
v_cmp_lt_u32 s[36:37], v48, s[sgprSizesFree+0]     // coord0 < size0
v_cmp_lt_u32 s[38:39], v49, s[sgprSizesFree+1]     // coord1 < size1
s_and_b64 s[72:73], s[36:37], s[38:39]             // in0 && in1
s_mov_b64 exec, s[72:73]                           // sgprs -> exec
_v_add_co_u32 v124, vcc, v50, v56                  // addrVgpr = D + index*bytes (lo)
_v_addc_co_u32 v125, vcc, v51, v57, vcc            // addrVgpr = D + index*bytes (hi)
s_mov_b64 exec, -1                                 // full mask -1 -> exec
/* (d1,vc1,d0,vc0)=(5,1,1,0) */
_v_add_co_u32 v54, vcc, v48, 64                    // coord0.1: coord0 += d0*sg0*VW + vc0
GLOBAL_OFFSET_C 132, 54, 49, sgprWorkGroup2, 56
v_mov_b32 v56, v132                                // temp store offset 0
v_mov_b32 v57, v133                                // temp store offset 1
v_cmp_lt_u32 s[36:37], v54, s[sgprSizesFree+0]     // coord0 < size0
v_cmp_lt_u32 s[38:39], v49, s[sgprSizesFree+1]     // coord1 < size1
s_and_b64 s[74:75], s[36:37], s[38:39]             // in0 && in1
s_mov_b64 exec, s[74:75]                           // sgprs -> exec
_v_add_co_u32 v132, vcc, v52, v56                  // addrVgpr = C + index*bytes (lo)
_v_addc_co_u32 v133, vcc, v53, v57, vcc            // addrVgpr = C + index*bytes (hi)
_global_load_b32 v127, v[132:133], off, offset:0   // load C for beta calc
GLOBAL_OFFSET_D 132, 54, 49, sgprWorkGroup2, 56
v_mov_b32 v56, v132                                // temp store offset 0
v_mov_b32 v57, v133                                // temp store offset 1
v_cmp_lt_u32 s[36:37], v54, s[sgprSizesFree+0]     // coord0 < size0
v_cmp_lt_u32 s[38:39], v49, s[sgprSizesFree+1]     // coord1 < size1
s_and_b64 s[74:75], s[36:37], s[38:39]             // in0 && in1
s_mov_b64 exec, s[74:75]                           // sgprs -> exec
_v_add_co_u32 v132, vcc, v50, v56                  // addrVgpr = D + index*bytes (lo)
_v_addc_co_u32 v133, vcc, v51, v57, vcc            // addrVgpr = D + index*bytes (hi)
s_mov_b64 exec, -1                                 // full mask -1 -> exec
/* (d1,vc1,d0,vc0)=(5,2,0,0) */
_v_add_co_u32 v49, vcc, v49, 1                     // coord1.1: coord1Vgpr += d1*sg1*VW + vc1
	;; [unrolled: 44-line block ×3, first 2 shown]
GLOBAL_OFFSET_C 142, 48, 49, sgprWorkGroup2, 56
v_mov_b32 v56, v142                                // temp store offset 0
v_mov_b32 v57, v143                                // temp store offset 1
v_cmp_lt_u32 s[36:37], v48, s[sgprSizesFree+0]     // coord0 < size0
v_cmp_lt_u32 s[38:39], v49, s[sgprSizesFree+1]     // coord1 < size1
s_and_b64 s[80:81], s[36:37], s[38:39]             // in0 && in1
s_mov_b64 exec, s[80:81]                           // sgprs -> exec
_v_add_co_u32 v142, vcc, v52, v56                  // addrVgpr = C + index*bytes (lo)
_v_addc_co_u32 v143, vcc, v53, v57, vcc            // addrVgpr = C + index*bytes (hi)
_global_load_b32 v144, v[142:143], off, offset:0   // load C for beta calc
GLOBAL_OFFSET_D 142, 48, 49, sgprWorkGroup2, 56
v_mov_b32 v56, v142                                // temp store offset 0
v_mov_b32 v57, v143                                // temp store offset 1
v_cmp_lt_u32 s[36:37], v48, s[sgprSizesFree+0]     // coord0 < size0
v_cmp_lt_u32 s[38:39], v49, s[sgprSizesFree+1]     // coord1 < size1
s_and_b64 s[80:81], s[36:37], s[38:39]             // in0 && in1
s_mov_b64 exec, s[80:81]                           // sgprs -> exec
_v_add_co_u32 v142, vcc, v50, v56                  // addrVgpr = D + index*bytes (lo)
_v_addc_co_u32 v143, vcc, v51, v57, vcc            // addrVgpr = D + index*bytes (hi)
s_mov_b64 exec, -1                                 // full mask -1 -> exec
/* (d1,vc1,d0,vc0)=(5,3,1,0) */
_v_add_co_u32 v54, vcc, v48, 64                    // coord0.1: coord0 += d0*sg0*VW + vc0
GLOBAL_OFFSET_C 146, 54, 49, sgprWorkGroup2, 56
v_mov_b32 v56, v146                                // temp store offset 0
v_mov_b32 v57, v147                                // temp store offset 1
v_cmp_lt_u32 s[36:37], v54, s[sgprSizesFree+0]     // coord0 < size0
v_cmp_lt_u32 s[38:39], v49, s[sgprSizesFree+1]     // coord1 < size1
s_and_b64 s[82:83], s[36:37], s[38:39]             // in0 && in1
s_mov_b64 exec, s[82:83]                           // sgprs -> exec
_v_add_co_u32 v146, vcc, v52, v56                  // addrVgpr = C + index*bytes (lo)
_v_addc_co_u32 v147, vcc, v53, v57, vcc            // addrVgpr = C + index*bytes (hi)
_global_load_b32 v148, v[146:147], off, offset:0   // load C for beta calc
GLOBAL_OFFSET_D 146, 54, 49, sgprWorkGroup2, 56
v_mov_b32 v56, v146                                // temp store offset 0
v_mov_b32 v57, v147                                // temp store offset 1
v_cmp_lt_u32 s[36:37], v54, s[sgprSizesFree+0]     // coord0 < size0
v_cmp_lt_u32 s[38:39], v49, s[sgprSizesFree+1]     // coord1 < size1
s_and_b64 s[82:83], s[36:37], s[38:39]             // in0 && in1
s_mov_b64 exec, s[82:83]                           // sgprs -> exec
_v_add_co_u32 v146, vcc, v50, v56                  // addrVgpr = D + index*bytes (lo)
_v_addc_co_u32 v147, vcc, v51, v57, vcc            // addrVgpr = D + index*bytes (hi)
s_mov_b64 exec, -1                                 // full mask -1 -> exec

/* rC *= alpha batchElements=[(3, 0, 1, 0), (3, 1, 1, 0), (3, 0, 2, 0), (3, 1, 2, 0), (3, 0, 3, 0), (3, 1, 3, 0), (4, 0, 0, 0), (4, 1, 0, 0), (4, 0, 1, 0), (4, 1, 1, 0), (4, 0, 2, 0), (4, 1, 2, 0), (4, 0, 3, 0), (4, 1, 3, 0), (5, 0, 0, 0), (5, 1, 0, 0), (5, 0, 1, 0), (5, 1, 1, 0), (5, 0, 2, 0), (5, 1, 2, 0), (5, 0, 3, 0), (5, 1, 3, 0)] */
v_mul_f32 v[vgprValuC+62], s[sgprAlpha], v[vgprValuC+25] // Multiply MI out reg with alpha
v_mul_f32 v[vgprValuC+66], s[sgprAlpha], v[vgprValuC+29] // Multiply MI out reg with alpha
	;; [unrolled: 1-line block ×22, first 2 shown]
s_waitcnt vmcnt(0)                                 // wait C

/* apply mask, calc new C and issue writes */
s_mov_b64 exec, s[40:41]                           // sgprs -> exec
_v_mac_f32 v[vgprValuC+62], v59, s[sgprBeta]       // finalSum = sum*alpha + C*beta
_global_store_b32 v[60:61], v62, off               // store D
s_mov_b64 exec, s[42:43]                           // sgprs -> exec
_v_mac_f32 v[vgprValuC+66], v63, s[sgprBeta]       // finalSum = sum*alpha + C*beta
_global_store_b32 v[64:65], v66, off               // store D
	;; [unrolled: 3-line block ×10, first 2 shown]
s_mov_b64 exec, s[60:61]                           // sgprs -> exec
_v_mac_f32 v[vgprValuC+102], v99, s[sgprBeta]      // finalSum = sum*alpha + C*beta
_global_store_b32 v[100:101], v102, off            // store D
s_mov_b64 exec, s[62:63]                           // sgprs -> exec
_v_mac_f32 v[vgprValuC+106], v103, s[sgprBeta]     // finalSum = sum*alpha + C*beta
_global_store_b32 v[104:105], v106, off            // store D
s_mov_b64 exec, s[64:65]                           // sgprs -> exec
_v_mac_f32 v[vgprValuC+110], v107, s[sgprBeta]     // finalSum = sum*alpha + C*beta
	;; [unrolled: 3-line block ×11, first 2 shown]
_global_store_b32 v[146:147], v149, off            // store D
s_mov_b64 exec, -1                                 // full mask -> exec
s_nop 0                                            // 1 wait state required when next inst writes vgprs held by previous dwordx4 store inst
s_branch label_GW_End_32                           // jump to end
label_GW_End_32:

label_0037:  /// KernelEnd
s_endpgm                                           // Kernel End

